;; amdgpu-corpus repo=ROCm/rocSOLVER kind=compiled arch=gfx90a opt=O3
	.text
	.amdgcn_target "amdgcn-amd-amdhsa--gfx90a"
	.amdhsa_code_object_version 6
	.section	.text._ZN9rocsolver6v33100L16mfma_gemm_kernelI19rocblas_complex_numIdEiPKS3_PS3_S6_S6_EEv18rocblas_operation_S7_T0_S8_S8_T1_T2_lS8_S8_lT3_lS8_S8_lS9_T4_lS8_S8_l,"axG",@progbits,_ZN9rocsolver6v33100L16mfma_gemm_kernelI19rocblas_complex_numIdEiPKS3_PS3_S6_S6_EEv18rocblas_operation_S7_T0_S8_S8_T1_T2_lS8_S8_lT3_lS8_S8_lS9_T4_lS8_S8_l,comdat
	.globl	_ZN9rocsolver6v33100L16mfma_gemm_kernelI19rocblas_complex_numIdEiPKS3_PS3_S6_S6_EEv18rocblas_operation_S7_T0_S8_S8_T1_T2_lS8_S8_lT3_lS8_S8_lS9_T4_lS8_S8_l ; -- Begin function _ZN9rocsolver6v33100L16mfma_gemm_kernelI19rocblas_complex_numIdEiPKS3_PS3_S6_S6_EEv18rocblas_operation_S7_T0_S8_S8_T1_T2_lS8_S8_lT3_lS8_S8_lS9_T4_lS8_S8_l
	.p2align	8
	.type	_ZN9rocsolver6v33100L16mfma_gemm_kernelI19rocblas_complex_numIdEiPKS3_PS3_S6_S6_EEv18rocblas_operation_S7_T0_S8_S8_T1_T2_lS8_S8_lT3_lS8_S8_lS9_T4_lS8_S8_l,@function
_ZN9rocsolver6v33100L16mfma_gemm_kernelI19rocblas_complex_numIdEiPKS3_PS3_S6_S6_EEv18rocblas_operation_S7_T0_S8_S8_T1_T2_lS8_S8_lT3_lS8_S8_lS9_T4_lS8_S8_l: ; @_ZN9rocsolver6v33100L16mfma_gemm_kernelI19rocblas_complex_numIdEiPKS3_PS3_S6_S6_EEv18rocblas_operation_S7_T0_S8_S8_T1_T2_lS8_S8_lT3_lS8_S8_lS9_T4_lS8_S8_l
; %bb.0:
	s_load_dword s0, s[4:5], 0x94
	s_load_dwordx4 s[40:43], s[4:5], 0x0
	v_and_b32_e32 v34, 0x3ff, v0
	v_bfe_u32 v0, v0, 10, 10
	v_lshrrev_b32_e32 v1, 6, v34
	s_waitcnt lgkmcnt(0)
	s_lshr_b32 s1, s0, 16
	s_bfe_u32 s0, s0, 0xa0006
	s_mul_i32 s7, s7, s1
	s_mul_i32 s6, s6, s0
	v_add_u32_e32 v0, s7, v0
	v_add_lshl_u32 v35, s6, v1, 4
	v_lshlrev_b32_e32 v36, 4, v0
	v_cmp_gt_i32_e32 vcc, s42, v35
	v_cmp_gt_i32_e64 s[0:1], s43, v36
	s_and_b64 s[0:1], vcc, s[0:1]
	s_and_saveexec_b64 s[2:3], s[0:1]
	s_cbranch_execz .LBB0_36
; %bb.1:
	s_ashr_i32 s6, s42, 31
	s_lshr_b32 s6, s6, 28
	s_add_i32 s6, s42, s6
	s_load_dword s33, s[4:5], 0x10
	s_load_dwordx4 s[0:3], s[4:5], 0x18
	s_load_dwordx8 s[12:19], s[4:5], 0x58
	s_and_b32 s6, s6, -16
	s_sub_i32 s6, s42, s6
	v_mov_b32_e32 v1, s6
	s_ashr_i32 s6, s43, 31
	s_lshr_b32 s6, s6, 28
	s_add_i32 s6, s43, s6
	v_add_u32_e32 v0, 16, v35
	s_and_b32 s6, s6, -16
	s_waitcnt lgkmcnt(0)
	s_load_dwordx4 s[36:39], s[0:1], 0x0
	s_load_dwordx4 s[28:31], s[14:15], 0x0
	v_cmp_lt_i32_e32 vcc, s42, v0
	v_add_u32_e32 v0, 16, v36
	s_sub_i32 s6, s43, s6
	v_cndmask_b32_e32 v32, 16, v1, vcc
	v_mov_b32_e32 v1, s6
	v_cmp_lt_i32_e32 vcc, s43, v0
	v_cndmask_b32_e32 v37, 16, v1, vcc
	s_ashr_i32 s9, s8, 31
	v_bfe_u32 v38, v34, 2, 4
	v_pk_mov_b32 v[20:21], 0, 0
	v_and_b32_e32 v33, 3, v34
	s_cmp_lt_i32 s33, 1
	v_cmp_lt_i32_e64 s[0:1], v38, v37
	v_mbcnt_lo_u32_b32 v39, -1, 0
	v_pk_mov_b32 v[22:23], v[20:21], v[20:21] op_sel:[0,1]
	v_pk_mov_b32 v[8:9], v[20:21], v[20:21] op_sel:[0,1]
	;; [unrolled: 1-line block ×7, first 2 shown]
	s_cbranch_scc1 .LBB0_28
; %bb.2:
	s_load_dwordx8 s[20:27], s[4:5], 0x28
	s_load_dwordx4 s[44:47], s[4:5], 0x48
	v_and_b32_e32 v2, 63, v34
	v_lshrrev_b32_e32 v44, 4, v2
	v_pk_mov_b32 v[8:9], 0, 0
	s_waitcnt lgkmcnt(0)
	s_mul_i32 s6, s8, s25
	s_mul_hi_u32 s7, s8, s24
	s_mul_i32 s10, s9, s24
	s_add_i32 s6, s7, s6
	s_add_i32 s7, s6, s10
	s_mul_i32 s6, s8, s24
	s_lshl_b64 s[6:7], s[6:7], 4
	s_add_u32 s6, s2, s6
	s_addc_u32 s7, s3, s7
	s_lshl_b64 s[2:3], s[20:21], 4
	s_add_u32 s6, s6, s2
	s_addc_u32 s7, s7, s3
	s_mul_i32 s2, s8, s13
	s_mul_hi_u32 s3, s8, s12
	s_add_i32 s2, s3, s2
	s_mul_i32 s3, s9, s12
	s_add_i32 s3, s2, s3
	s_mul_i32 s2, s8, s12
	s_lshl_b64 s[2:3], s[2:3], 4
	s_add_u32 s10, s26, s2
	s_addc_u32 s11, s27, s3
	s_lshl_b64 s[2:3], s[44:45], 4
	s_add_u32 s2, s10, s2
	s_addc_u32 s3, s11, s3
	s_cmpk_lg_i32 s40, 0x6f
	s_cselect_b64 s[20:21], -1, 0
	s_cmpk_eq_i32 s40, 0x6f
	s_cselect_b32 s10, s22, s23
	v_mul_lo_u32 v0, v35, s10
	v_ashrrev_i32_e32 v1, 31, v0
	s_cmpk_lg_i32 s41, 0x6f
	v_lshlrev_b64 v[0:1], 4, v[0:1]
	s_cselect_b64 s[24:25], -1, 0
	s_cmpk_eq_i32 s41, 0x6f
	v_add_co_u32_e32 v40, vcc, s6, v0
	s_cselect_b32 s6, s47, s46
	v_mov_b32_e32 v3, s7
	v_mul_lo_u32 v0, v36, s6
	v_addc_co_u32_e32 v41, vcc, v3, v1, vcc
	v_ashrrev_i32_e32 v1, 31, v0
	v_lshlrev_b64 v[0:1], 4, v[0:1]
	v_mov_b32_e32 v3, s3
	v_add_co_u32_e32 v42, vcc, s2, v0
	v_addc_co_u32_e32 v43, vcc, v3, v1, vcc
	v_and_b32_e32 v1, 15, v34
	v_mul_lo_u32 v0, v1, s22
	s_cmpk_eq_i32 s40, 0x71
	v_mad_u64_u32 v[24:25], s[26:27], s23, v44, v[0:1]
	v_mul_lo_u32 v0, s22, v33
	s_cselect_b64 s[10:11], -1, 0
	s_cmpk_eq_i32 s41, 0x71
	v_mad_u64_u32 v[26:27], s[26:27], v38, s23, v[0:1]
	v_mul_lo_u32 v0, s46, v33
	v_lshl_or_b32 v3, v1, 2, v44
	s_cselect_b64 s[12:13], -1, 0
	s_lshl_b32 s40, s23, 2
	s_lshl_b32 s41, s22, 2
	v_mad_u64_u32 v[28:29], s[22:23], v38, s47, v[0:1]
	v_mbcnt_hi_u32_b32 v0, -1, v39
	v_mul_lo_u32 v2, v1, s46
	v_and_or_b32 v0, v0, 64, v3
	v_cmp_lt_i32_e64 s[2:3], v38, v32
	v_cmp_lt_i32_e64 s[6:7], v1, v32
	;; [unrolled: 1-line block ×3, first 2 shown]
	s_lshl_b32 s42, s46, 2
	v_mad_u64_u32 v[30:31], s[22:23], s47, v44, v[2:3]
	s_lshl_b32 s43, s47, 2
	s_mov_b32 s44, 0
	v_lshlrev_b32_e32 v45, 2, v0
	v_pk_mov_b32 v[12:13], v[8:9], v[8:9] op_sel:[0,1]
	v_pk_mov_b32 v[16:17], v[8:9], v[8:9] op_sel:[0,1]
	v_pk_mov_b32 v[10:11], v[8:9], v[8:9] op_sel:[0,1]
	v_pk_mov_b32 v[14:15], v[8:9], v[8:9] op_sel:[0,1]
	v_pk_mov_b32 v[18:19], v[8:9], v[8:9] op_sel:[0,1]
	v_pk_mov_b32 v[20:21], v[8:9], v[8:9] op_sel:[0,1]
	v_pk_mov_b32 v[22:23], v[8:9], v[8:9] op_sel:[0,1]
	s_branch .LBB0_6
.LBB0_3:                                ;   in Loop: Header=BB0_6 Depth=1
	s_or_b64 exec, exec, s[26:27]
.LBB0_4:                                ;   in Loop: Header=BB0_6 Depth=1
	s_or_b64 exec, exec, s[22:23]
	s_waitcnt vmcnt(0)
	ds_bpermute_b32 v4, v45, v4
	ds_bpermute_b32 v5, v45, v5
	;; [unrolled: 1-line block ×4, first 2 shown]
.LBB0_5:                                ;   in Loop: Header=BB0_6 Depth=1
	s_waitcnt vmcnt(0) lgkmcnt(0)
	v_xor_b32_e32 v25, 0x80000000, v3
	v_cndmask_b32_e64 v3, v3, v25, s[10:11]
	v_cndmask_b32_e64 v2, v2, v2, s[10:11]
	v_xor_b32_e32 v25, 0x80000000, v7
	v_cndmask_b32_e64 v7, v7, v25, s[12:13]
	v_cndmask_b32_e64 v6, v6, v6, s[12:13]
	v_mfma_f64_16x16x4f64 v[46:53], v[0:1], v[4:5], 0
	s_add_i32 s44, s44, 4
	s_cmp_ge_i32 s44, s33
	v_add_u32_e32 v24, s40, v24
	v_add_u32_e32 v26, s41, v26
	;; [unrolled: 1-line block ×4, first 2 shown]
	v_mfma_f64_16x16x4f64 v[54:61], v[2:3], v[6:7], 0
	s_nop 7
	s_nop 2
	v_add_f64 v[60:61], v[52:53], -v[60:61]
	v_add_f64 v[58:59], v[50:51], -v[58:59]
	v_add_f64 v[56:57], v[48:49], -v[56:57]
	v_add_f64 v[54:55], v[46:47], -v[54:55]
	v_add_f64 v[20:21], v[20:21], v[54:55]
	v_add_f64 v[18:19], v[18:19], v[56:57]
	;; [unrolled: 1-line block ×4, first 2 shown]
	v_mfma_f64_16x16x4f64 v[46:53], v[0:1], v[6:7], 0
	v_mfma_f64_16x16x4f64 v[0:7], v[2:3], v[4:5], 0
	s_nop 7
	s_nop 2
	v_add_f64 v[6:7], v[52:53], v[6:7]
	v_add_f64 v[4:5], v[50:51], v[4:5]
	;; [unrolled: 1-line block ×8, first 2 shown]
	s_cbranch_scc1 .LBB0_28
.LBB0_6:                                ; =>This Inner Loop Header: Depth=1
	s_and_b64 vcc, exec, s[20:21]
	s_cbranch_vccz .LBB0_18
; %bb.7:                                ;   in Loop: Header=BB0_6 Depth=1
	v_pk_mov_b32 v[0:1], 0, 0
	s_mov_b64 s[22:23], 0
	v_pk_mov_b32 v[2:3], v[0:1], v[0:1] op_sel:[0,1]
	s_and_saveexec_b64 s[26:27], s[2:3]
	s_cbranch_execz .LBB0_11
; %bb.8:                                ;   in Loop: Header=BB0_6 Depth=1
	v_add_u32_e32 v0, s44, v33
	v_pk_mov_b32 v[2:3], 0, 0
	v_cmp_gt_i32_e32 vcc, s33, v0
	v_pk_mov_b32 v[0:1], v[2:3], v[2:3] op_sel:[0,1]
	s_and_saveexec_b64 s[34:35], vcc
	s_cbranch_execz .LBB0_10
; %bb.9:                                ;   in Loop: Header=BB0_6 Depth=1
	v_ashrrev_i32_e32 v27, 31, v26
	v_lshlrev_b64 v[0:1], 4, v[26:27]
	v_add_co_u32_e32 v0, vcc, v40, v0
	v_addc_co_u32_e32 v1, vcc, v41, v1, vcc
	global_load_dwordx4 v[0:3], v[0:1], off
.LBB0_10:                               ;   in Loop: Header=BB0_6 Depth=1
	s_or_b64 exec, exec, s[34:35]
.LBB0_11:                               ;   in Loop: Header=BB0_6 Depth=1
	s_or_b64 exec, exec, s[26:27]
	s_waitcnt vmcnt(0)
	ds_bpermute_b32 v0, v45, v0
	ds_bpermute_b32 v1, v45, v1
	;; [unrolled: 1-line block ×4, first 2 shown]
	s_and_b64 vcc, exec, s[22:23]
	s_cbranch_vccnz .LBB0_19
.LBB0_12:                               ;   in Loop: Header=BB0_6 Depth=1
	s_and_b64 vcc, exec, s[24:25]
	s_cbranch_vccz .LBB0_24
.LBB0_13:                               ;   in Loop: Header=BB0_6 Depth=1
	v_pk_mov_b32 v[6:7], 0, 0
	s_mov_b64 s[22:23], 0
	v_pk_mov_b32 v[4:5], v[6:7], v[6:7] op_sel:[0,1]
	s_and_saveexec_b64 s[26:27], s[14:15]
	s_cbranch_execz .LBB0_17
; %bb.14:                               ;   in Loop: Header=BB0_6 Depth=1
	v_add_u32_e32 v4, s44, v44
	v_pk_mov_b32 v[6:7], 0, 0
	v_cmp_gt_i32_e32 vcc, s33, v4
	v_pk_mov_b32 v[4:5], v[6:7], v[6:7] op_sel:[0,1]
	s_and_saveexec_b64 s[34:35], vcc
	s_cbranch_execz .LBB0_16
; %bb.15:                               ;   in Loop: Header=BB0_6 Depth=1
	v_ashrrev_i32_e32 v31, 31, v30
	v_lshlrev_b64 v[4:5], 4, v[30:31]
	v_add_co_u32_e32 v4, vcc, v42, v4
	v_addc_co_u32_e32 v5, vcc, v43, v5, vcc
	global_load_dwordx4 v[4:7], v[4:5], off
.LBB0_16:                               ;   in Loop: Header=BB0_6 Depth=1
	s_or_b64 exec, exec, s[34:35]
.LBB0_17:                               ;   in Loop: Header=BB0_6 Depth=1
	s_or_b64 exec, exec, s[26:27]
	s_andn2_b64 vcc, exec, s[22:23]
	s_cbranch_vccnz .LBB0_5
	s_branch .LBB0_25
.LBB0_18:                               ;   in Loop: Header=BB0_6 Depth=1
                                        ; implicit-def: $vgpr2_vgpr3
	s_cbranch_execz .LBB0_12
.LBB0_19:                               ;   in Loop: Header=BB0_6 Depth=1
	s_waitcnt lgkmcnt(0)
	v_pk_mov_b32 v[2:3], 0, 0
	v_pk_mov_b32 v[0:1], v[2:3], v[2:3] op_sel:[0,1]
	s_and_saveexec_b64 s[22:23], s[6:7]
	s_cbranch_execz .LBB0_23
; %bb.20:                               ;   in Loop: Header=BB0_6 Depth=1
	v_add_u32_e32 v0, s44, v44
	v_pk_mov_b32 v[2:3], 0, 0
	v_cmp_gt_i32_e32 vcc, s33, v0
	v_pk_mov_b32 v[0:1], v[2:3], v[2:3] op_sel:[0,1]
	s_and_saveexec_b64 s[26:27], vcc
	s_cbranch_execz .LBB0_22
; %bb.21:                               ;   in Loop: Header=BB0_6 Depth=1
	v_ashrrev_i32_e32 v25, 31, v24
	v_lshlrev_b64 v[0:1], 4, v[24:25]
	v_add_co_u32_e32 v0, vcc, v40, v0
	v_addc_co_u32_e32 v1, vcc, v41, v1, vcc
	global_load_dwordx4 v[0:3], v[0:1], off
.LBB0_22:                               ;   in Loop: Header=BB0_6 Depth=1
	s_or_b64 exec, exec, s[26:27]
.LBB0_23:                               ;   in Loop: Header=BB0_6 Depth=1
	s_or_b64 exec, exec, s[22:23]
	s_and_b64 vcc, exec, s[24:25]
	s_cbranch_vccnz .LBB0_13
.LBB0_24:                               ;   in Loop: Header=BB0_6 Depth=1
                                        ; implicit-def: $vgpr6_vgpr7
.LBB0_25:                               ;   in Loop: Header=BB0_6 Depth=1
	s_waitcnt vmcnt(0)
	v_pk_mov_b32 v[4:5], 0, 0
	v_pk_mov_b32 v[6:7], v[4:5], v[4:5] op_sel:[0,1]
	s_and_saveexec_b64 s[22:23], s[0:1]
	s_cbranch_execz .LBB0_4
; %bb.26:                               ;   in Loop: Header=BB0_6 Depth=1
	v_add_u32_e32 v4, s44, v33
	v_pk_mov_b32 v[6:7], 0, 0
	v_cmp_gt_i32_e32 vcc, s33, v4
	v_pk_mov_b32 v[4:5], v[6:7], v[6:7] op_sel:[0,1]
	s_and_saveexec_b64 s[26:27], vcc
	s_cbranch_execz .LBB0_3
; %bb.27:                               ;   in Loop: Header=BB0_6 Depth=1
	v_ashrrev_i32_e32 v29, 31, v28
	v_lshlrev_b64 v[4:5], 4, v[28:29]
	v_add_co_u32_e32 v4, vcc, v42, v4
	v_addc_co_u32_e32 v5, vcc, v43, v5, vcc
	global_load_dwordx4 v[4:7], v[4:5], off
	s_branch .LBB0_3
.LBB0_28:
	s_load_dwordx4 s[4:7], s[4:5], 0x78
	s_waitcnt lgkmcnt(0)
	s_mul_i32 s1, s8, s7
	s_mul_hi_u32 s2, s8, s6
	s_mul_i32 s3, s9, s6
	s_add_i32 s1, s2, s1
	s_mul_i32 s0, s8, s6
	s_add_i32 s1, s1, s3
	s_lshl_b64 s[0:1], s[0:1], 4
	s_add_u32 s2, s16, s0
	s_addc_u32 s3, s17, s1
	s_lshl_b64 s[0:1], s[18:19], 4
	s_add_u32 s2, s2, s0
	v_mul_lo_u32 v0, v35, s4
	s_addc_u32 s3, s3, s1
	v_mad_u64_u32 v[0:1], s[0:1], v36, s5, v[0:1]
	v_ashrrev_i32_e32 v1, 31, v0
	v_lshlrev_b64 v[2:3], 4, v[0:1]
	v_mov_b32_e32 v0, s3
	v_add_co_u32_e32 v1, vcc, s2, v2
	v_addc_co_u32_e32 v6, vcc, v0, v3, vcc
	v_lshlrev_b32_e32 v0, 4, v34
	v_mbcnt_hi_u32_b32 v2, -1, v39
	v_and_b32_e32 v0, 48, v0
	v_and_b32_e32 v2, 64, v2
	v_or3_b32 v0, v0, v2, v38
	v_lshlrev_b32_e32 v7, 2, v0
	ds_bpermute_b32 v2, v7, v20
	ds_bpermute_b32 v3, v7, v21
	;; [unrolled: 1-line block ×4, first 2 shown]
	v_cmp_lt_i32_e32 vcc, v38, v37
	v_cmp_lt_i32_e64 s[0:1], v33, v32
	v_mul_lo_u32 v0, v38, s5
	s_and_b64 s[0:1], vcc, s[0:1]
	s_and_saveexec_b64 s[2:3], s[0:1]
	s_cbranch_execz .LBB0_30
; %bb.29:
	v_mad_u64_u32 v[20:21], s[0:1], v33, s4, v[0:1]
	v_ashrrev_i32_e32 v21, 31, v20
	v_lshlrev_b64 v[20:21], 4, v[20:21]
	v_add_co_u32_e64 v24, s[0:1], v1, v20
	v_addc_co_u32_e64 v25, s[0:1], v6, v21, s[0:1]
	global_load_dwordx4 v[20:23], v[24:25], off
	s_waitcnt lgkmcnt(0)
	v_mul_f64 v[26:27], s[38:39], v[4:5]
	v_mul_f64 v[4:5], s[36:37], v[4:5]
	v_fma_f64 v[26:27], s[36:37], v[2:3], -v[26:27]
	v_fmac_f64_e32 v[4:5], s[38:39], v[2:3]
	s_waitcnt vmcnt(0)
	v_mul_f64 v[2:3], s[30:31], v[22:23]
	v_mul_f64 v[22:23], s[28:29], v[22:23]
	v_fma_f64 v[2:3], s[28:29], v[20:21], -v[2:3]
	v_fmac_f64_e32 v[22:23], s[30:31], v[20:21]
	v_add_f64 v[2:3], v[26:27], v[2:3]
	v_add_f64 v[4:5], v[4:5], v[22:23]
	global_store_dwordx4 v[24:25], v[2:5], off
.LBB0_30:
	s_or_b64 exec, exec, s[2:3]
	s_waitcnt lgkmcnt(3)
	ds_bpermute_b32 v2, v7, v18
	s_waitcnt lgkmcnt(3)
	ds_bpermute_b32 v3, v7, v19
	s_waitcnt lgkmcnt(3)
	ds_bpermute_b32 v4, v7, v16
	s_waitcnt lgkmcnt(3)
	ds_bpermute_b32 v5, v7, v17
	v_or_b32_e32 v16, 4, v33
	v_cmp_lt_i32_e64 s[0:1], v16, v32
	s_and_b64 s[0:1], vcc, s[0:1]
	s_and_saveexec_b64 s[2:3], s[0:1]
	s_cbranch_execz .LBB0_32
; %bb.31:
	v_mad_u64_u32 v[16:17], s[0:1], v16, s4, v[0:1]
	v_ashrrev_i32_e32 v17, 31, v16
	v_lshlrev_b64 v[16:17], 4, v[16:17]
	v_add_co_u32_e64 v20, s[0:1], v1, v16
	v_addc_co_u32_e64 v21, s[0:1], v6, v17, s[0:1]
	global_load_dwordx4 v[16:19], v[20:21], off
	s_waitcnt lgkmcnt(0)
	v_mul_f64 v[22:23], s[38:39], v[4:5]
	v_mul_f64 v[4:5], s[36:37], v[4:5]
	v_fma_f64 v[22:23], s[36:37], v[2:3], -v[22:23]
	v_fmac_f64_e32 v[4:5], s[38:39], v[2:3]
	s_waitcnt vmcnt(0)
	v_mul_f64 v[2:3], s[30:31], v[18:19]
	v_mul_f64 v[18:19], s[28:29], v[18:19]
	v_fma_f64 v[2:3], s[28:29], v[16:17], -v[2:3]
	v_fmac_f64_e32 v[18:19], s[30:31], v[16:17]
	v_add_f64 v[2:3], v[22:23], v[2:3]
	v_add_f64 v[4:5], v[4:5], v[18:19]
	global_store_dwordx4 v[20:21], v[2:5], off
.LBB0_32:
	s_or_b64 exec, exec, s[2:3]
	s_waitcnt lgkmcnt(3)
	ds_bpermute_b32 v2, v7, v14
	s_waitcnt lgkmcnt(3)
	ds_bpermute_b32 v3, v7, v15
	s_waitcnt lgkmcnt(3)
	ds_bpermute_b32 v4, v7, v12
	s_waitcnt lgkmcnt(3)
	ds_bpermute_b32 v5, v7, v13
	v_or_b32_e32 v12, 8, v33
	v_cmp_lt_i32_e64 s[0:1], v12, v32
	;; [unrolled: 35-line block ×3, first 2 shown]
	s_and_b64 s[0:1], vcc, s[0:1]
	s_and_b64 exec, exec, s[0:1]
	s_cbranch_execz .LBB0_36
; %bb.35:
	v_mad_u64_u32 v[8:9], s[0:1], v7, s4, v[0:1]
	v_ashrrev_i32_e32 v9, 31, v8
	v_lshlrev_b64 v[8:9], 4, v[8:9]
	v_add_co_u32_e32 v10, vcc, v1, v8
	v_addc_co_u32_e32 v11, vcc, v6, v9, vcc
	global_load_dwordx4 v[6:9], v[10:11], off
	s_waitcnt lgkmcnt(0)
	v_mul_f64 v[0:1], s[38:39], v[4:5]
	v_mul_f64 v[4:5], s[36:37], v[4:5]
	v_fma_f64 v[0:1], s[36:37], v[2:3], -v[0:1]
	v_fmac_f64_e32 v[4:5], s[38:39], v[2:3]
	s_waitcnt vmcnt(0)
	v_mul_f64 v[2:3], s[30:31], v[8:9]
	v_mul_f64 v[8:9], s[28:29], v[8:9]
	v_fma_f64 v[2:3], s[28:29], v[6:7], -v[2:3]
	v_fmac_f64_e32 v[8:9], s[30:31], v[6:7]
	v_add_f64 v[0:1], v[0:1], v[2:3]
	v_add_f64 v[2:3], v[4:5], v[8:9]
	global_store_dwordx4 v[10:11], v[0:3], off
.LBB0_36:
	s_endpgm
	.section	.rodata,"a",@progbits
	.p2align	6, 0x0
	.amdhsa_kernel _ZN9rocsolver6v33100L16mfma_gemm_kernelI19rocblas_complex_numIdEiPKS3_PS3_S6_S6_EEv18rocblas_operation_S7_T0_S8_S8_T1_T2_lS8_S8_lT3_lS8_S8_lS9_T4_lS8_S8_l
		.amdhsa_group_segment_fixed_size 0
		.amdhsa_private_segment_fixed_size 0
		.amdhsa_kernarg_size 392
		.amdhsa_user_sgpr_count 6
		.amdhsa_user_sgpr_private_segment_buffer 1
		.amdhsa_user_sgpr_dispatch_ptr 0
		.amdhsa_user_sgpr_queue_ptr 0
		.amdhsa_user_sgpr_kernarg_segment_ptr 1
		.amdhsa_user_sgpr_dispatch_id 0
		.amdhsa_user_sgpr_flat_scratch_init 0
		.amdhsa_user_sgpr_kernarg_preload_length 0
		.amdhsa_user_sgpr_kernarg_preload_offset 0
		.amdhsa_user_sgpr_private_segment_size 0
		.amdhsa_uses_dynamic_stack 0
		.amdhsa_system_sgpr_private_segment_wavefront_offset 0
		.amdhsa_system_sgpr_workgroup_id_x 1
		.amdhsa_system_sgpr_workgroup_id_y 1
		.amdhsa_system_sgpr_workgroup_id_z 1
		.amdhsa_system_sgpr_workgroup_info 0
		.amdhsa_system_vgpr_workitem_id 1
		.amdhsa_next_free_vgpr 62
		.amdhsa_next_free_sgpr 48
		.amdhsa_accum_offset 64
		.amdhsa_reserve_vcc 1
		.amdhsa_reserve_flat_scratch 0
		.amdhsa_float_round_mode_32 0
		.amdhsa_float_round_mode_16_64 0
		.amdhsa_float_denorm_mode_32 3
		.amdhsa_float_denorm_mode_16_64 3
		.amdhsa_dx10_clamp 1
		.amdhsa_ieee_mode 1
		.amdhsa_fp16_overflow 0
		.amdhsa_tg_split 0
		.amdhsa_exception_fp_ieee_invalid_op 0
		.amdhsa_exception_fp_denorm_src 0
		.amdhsa_exception_fp_ieee_div_zero 0
		.amdhsa_exception_fp_ieee_overflow 0
		.amdhsa_exception_fp_ieee_underflow 0
		.amdhsa_exception_fp_ieee_inexact 0
		.amdhsa_exception_int_div_zero 0
	.end_amdhsa_kernel
	.section	.text._ZN9rocsolver6v33100L16mfma_gemm_kernelI19rocblas_complex_numIdEiPKS3_PS3_S6_S6_EEv18rocblas_operation_S7_T0_S8_S8_T1_T2_lS8_S8_lT3_lS8_S8_lS9_T4_lS8_S8_l,"axG",@progbits,_ZN9rocsolver6v33100L16mfma_gemm_kernelI19rocblas_complex_numIdEiPKS3_PS3_S6_S6_EEv18rocblas_operation_S7_T0_S8_S8_T1_T2_lS8_S8_lT3_lS8_S8_lS9_T4_lS8_S8_l,comdat
.Lfunc_end0:
	.size	_ZN9rocsolver6v33100L16mfma_gemm_kernelI19rocblas_complex_numIdEiPKS3_PS3_S6_S6_EEv18rocblas_operation_S7_T0_S8_S8_T1_T2_lS8_S8_lT3_lS8_S8_lS9_T4_lS8_S8_l, .Lfunc_end0-_ZN9rocsolver6v33100L16mfma_gemm_kernelI19rocblas_complex_numIdEiPKS3_PS3_S6_S6_EEv18rocblas_operation_S7_T0_S8_S8_T1_T2_lS8_S8_lT3_lS8_S8_lS9_T4_lS8_S8_l
                                        ; -- End function
	.section	.AMDGPU.csdata,"",@progbits
; Kernel info:
; codeLenInByte = 2476
; NumSgprs: 52
; NumVgprs: 62
; NumAgprs: 0
; TotalNumVgprs: 62
; ScratchSize: 0
; MemoryBound: 1
; FloatMode: 240
; IeeeMode: 1
; LDSByteSize: 0 bytes/workgroup (compile time only)
; SGPRBlocks: 6
; VGPRBlocks: 7
; NumSGPRsForWavesPerEU: 52
; NumVGPRsForWavesPerEU: 62
; AccumOffset: 64
; Occupancy: 8
; WaveLimiterHint : 0
; COMPUTE_PGM_RSRC2:SCRATCH_EN: 0
; COMPUTE_PGM_RSRC2:USER_SGPR: 6
; COMPUTE_PGM_RSRC2:TRAP_HANDLER: 0
; COMPUTE_PGM_RSRC2:TGID_X_EN: 1
; COMPUTE_PGM_RSRC2:TGID_Y_EN: 1
; COMPUTE_PGM_RSRC2:TGID_Z_EN: 1
; COMPUTE_PGM_RSRC2:TIDIG_COMP_CNT: 1
; COMPUTE_PGM_RSRC3_GFX90A:ACCUM_OFFSET: 15
; COMPUTE_PGM_RSRC3_GFX90A:TG_SPLIT: 0
	.section	.text._ZN9rocsolver6v33100L16mfma_gemm_kernelI19rocblas_complex_numIdEiS3_PS3_S4_S4_EEv18rocblas_operation_S5_T0_S6_S6_T1_T2_lS6_S6_lT3_lS6_S6_lS7_T4_lS6_S6_l,"axG",@progbits,_ZN9rocsolver6v33100L16mfma_gemm_kernelI19rocblas_complex_numIdEiS3_PS3_S4_S4_EEv18rocblas_operation_S5_T0_S6_S6_T1_T2_lS6_S6_lT3_lS6_S6_lS7_T4_lS6_S6_l,comdat
	.globl	_ZN9rocsolver6v33100L16mfma_gemm_kernelI19rocblas_complex_numIdEiS3_PS3_S4_S4_EEv18rocblas_operation_S5_T0_S6_S6_T1_T2_lS6_S6_lT3_lS6_S6_lS7_T4_lS6_S6_l ; -- Begin function _ZN9rocsolver6v33100L16mfma_gemm_kernelI19rocblas_complex_numIdEiS3_PS3_S4_S4_EEv18rocblas_operation_S5_T0_S6_S6_T1_T2_lS6_S6_lT3_lS6_S6_lS7_T4_lS6_S6_l
	.p2align	8
	.type	_ZN9rocsolver6v33100L16mfma_gemm_kernelI19rocblas_complex_numIdEiS3_PS3_S4_S4_EEv18rocblas_operation_S5_T0_S6_S6_T1_T2_lS6_S6_lT3_lS6_S6_lS7_T4_lS6_S6_l,@function
_ZN9rocsolver6v33100L16mfma_gemm_kernelI19rocblas_complex_numIdEiS3_PS3_S4_S4_EEv18rocblas_operation_S5_T0_S6_S6_T1_T2_lS6_S6_lT3_lS6_S6_lS7_T4_lS6_S6_l: ; @_ZN9rocsolver6v33100L16mfma_gemm_kernelI19rocblas_complex_numIdEiS3_PS3_S4_S4_EEv18rocblas_operation_S5_T0_S6_S6_T1_T2_lS6_S6_lT3_lS6_S6_lS7_T4_lS6_S6_l
; %bb.0:
	s_load_dword s0, s[4:5], 0xa4
	s_load_dwordx4 s[12:15], s[4:5], 0x0
	v_and_b32_e32 v34, 0x3ff, v0
	v_bfe_u32 v0, v0, 10, 10
	v_lshrrev_b32_e32 v1, 6, v34
	s_waitcnt lgkmcnt(0)
	s_lshr_b32 s1, s0, 16
	s_bfe_u32 s0, s0, 0xa0006
	s_mul_i32 s7, s7, s1
	s_mul_i32 s6, s6, s0
	v_add_u32_e32 v0, s7, v0
	v_add_lshl_u32 v36, s6, v1, 4
	v_lshlrev_b32_e32 v37, 4, v0
	v_cmp_gt_i32_e32 vcc, s14, v36
	v_cmp_gt_i32_e64 s[0:1], s15, v37
	s_and_b64 s[0:1], vcc, s[0:1]
	s_and_saveexec_b64 s[2:3], s[0:1]
	s_cbranch_execz .LBB1_36
; %bb.1:
	s_ashr_i32 s0, s14, 31
	s_lshr_b32 s0, s0, 28
	s_add_i32 s0, s14, s0
	s_and_b32 s0, s0, -16
	s_sub_i32 s0, s14, s0
	v_mov_b32_e32 v1, s0
	s_ashr_i32 s0, s15, 31
	s_lshr_b32 s0, s0, 28
	s_add_i32 s0, s15, s0
	v_add_u32_e32 v0, 16, v36
	s_and_b32 s0, s0, -16
	v_cmp_lt_i32_e32 vcc, s14, v0
	v_add_u32_e32 v0, 16, v37
	s_sub_i32 s0, s15, s0
	s_load_dword s33, s[4:5], 0x10
	s_load_dwordx8 s[24:31], s[4:5], 0x18
	s_load_dwordx2 s[34:35], s[4:5], 0x80
	s_load_dwordx8 s[16:23], s[4:5], 0x60
	v_cndmask_b32_e32 v32, 16, v1, vcc
	v_mov_b32_e32 v1, s0
	v_cmp_lt_i32_e32 vcc, s15, v0
	v_cndmask_b32_e32 v35, 16, v1, vcc
	s_ashr_i32 s9, s8, 31
	v_bfe_u32 v38, v34, 2, 4
	v_pk_mov_b32 v[20:21], 0, 0
	v_and_b32_e32 v33, 3, v34
	s_waitcnt lgkmcnt(0)
	s_cmp_lt_i32 s33, 1
	v_cmp_lt_i32_e64 s[0:1], v38, v35
	v_mbcnt_lo_u32_b32 v39, -1, 0
	v_pk_mov_b32 v[22:23], v[20:21], v[20:21] op_sel:[0,1]
	v_pk_mov_b32 v[8:9], v[20:21], v[20:21] op_sel:[0,1]
	;; [unrolled: 1-line block ×7, first 2 shown]
	s_cbranch_scc1 .LBB1_28
; %bb.2:
	s_load_dwordx8 s[36:43], s[4:5], 0x40
	s_load_dwordx2 s[44:45], s[4:5], 0x38
	v_and_b32_e32 v2, 63, v34
	v_lshrrev_b32_e32 v44, 4, v2
	v_pk_mov_b32 v[8:9], 0, 0
	s_waitcnt lgkmcnt(0)
	s_mul_i32 s2, s8, s37
	s_mul_hi_u32 s3, s8, s36
	s_mul_i32 s6, s9, s36
	s_add_i32 s2, s3, s2
	s_add_i32 s3, s2, s6
	s_mul_i32 s2, s8, s36
	s_lshl_b64 s[2:3], s[2:3], 4
	s_add_u32 s6, s28, s2
	s_addc_u32 s7, s29, s3
	s_lshl_b64 s[2:3], s[30:31], 4
	s_add_u32 s6, s6, s2
	s_addc_u32 s7, s7, s3
	s_mul_i32 s2, s8, s17
	s_mul_hi_u32 s3, s8, s16
	s_add_i32 s2, s3, s2
	s_mul_i32 s3, s9, s16
	s_add_i32 s3, s2, s3
	s_mul_i32 s2, s8, s16
	s_lshl_b64 s[2:3], s[2:3], 4
	s_add_u32 s10, s38, s2
	s_addc_u32 s11, s39, s3
	s_lshl_b64 s[2:3], s[40:41], 4
	s_add_u32 s2, s10, s2
	s_addc_u32 s3, s11, s3
	s_cmpk_lg_i32 s12, 0x6f
	s_cselect_b64 s[16:17], -1, 0
	s_cmpk_eq_i32 s12, 0x6f
	s_cselect_b32 s10, s44, s45
	v_mul_lo_u32 v0, v36, s10
	v_ashrrev_i32_e32 v1, 31, v0
	s_cmpk_lg_i32 s13, 0x6f
	v_lshlrev_b64 v[0:1], 4, v[0:1]
	s_cselect_b64 s[28:29], -1, 0
	s_cmpk_eq_i32 s13, 0x6f
	v_add_co_u32_e32 v40, vcc, s6, v0
	s_cselect_b32 s6, s43, s42
	v_mov_b32_e32 v3, s7
	v_mul_lo_u32 v0, v37, s6
	v_addc_co_u32_e32 v41, vcc, v3, v1, vcc
	v_ashrrev_i32_e32 v1, 31, v0
	v_lshlrev_b64 v[0:1], 4, v[0:1]
	v_mov_b32_e32 v3, s3
	v_add_co_u32_e32 v42, vcc, s2, v0
	v_addc_co_u32_e32 v43, vcc, v3, v1, vcc
	v_and_b32_e32 v1, 15, v34
	v_mul_lo_u32 v0, v1, s44
	v_mad_u64_u32 v[24:25], s[30:31], s45, v44, v[0:1]
	v_mul_lo_u32 v0, s44, v33
	v_mad_u64_u32 v[26:27], s[30:31], v38, s45, v[0:1]
	v_mul_lo_u32 v0, s42, v33
	v_lshl_or_b32 v3, v1, 2, v44
	s_cmpk_eq_i32 s12, 0x71
	v_mad_u64_u32 v[28:29], s[30:31], v38, s43, v[0:1]
	v_mbcnt_hi_u32_b32 v0, -1, v39
	v_mul_lo_u32 v2, v1, s42
	s_cselect_b64 s[10:11], -1, 0
	s_cmpk_eq_i32 s13, 0x71
	v_and_or_b32 v0, v0, 64, v3
	v_cmp_lt_i32_e64 s[2:3], v38, v32
	v_cmp_lt_i32_e64 s[6:7], v1, v32
	;; [unrolled: 1-line block ×3, first 2 shown]
	s_cselect_b64 s[12:13], -1, 0
	s_lshl_b32 s40, s45, 2
	s_lshl_b32 s41, s44, 2
	;; [unrolled: 1-line block ×3, first 2 shown]
	v_mad_u64_u32 v[30:31], s[30:31], s43, v44, v[2:3]
	s_lshl_b32 s43, s43, 2
	s_mov_b32 s44, 0
	v_lshlrev_b32_e32 v45, 2, v0
	v_pk_mov_b32 v[12:13], v[8:9], v[8:9] op_sel:[0,1]
	v_pk_mov_b32 v[16:17], v[8:9], v[8:9] op_sel:[0,1]
	;; [unrolled: 1-line block ×7, first 2 shown]
	s_branch .LBB1_6
.LBB1_3:                                ;   in Loop: Header=BB1_6 Depth=1
	s_or_b64 exec, exec, s[36:37]
.LBB1_4:                                ;   in Loop: Header=BB1_6 Depth=1
	s_or_b64 exec, exec, s[30:31]
	s_waitcnt vmcnt(0)
	ds_bpermute_b32 v4, v45, v4
	ds_bpermute_b32 v5, v45, v5
	;; [unrolled: 1-line block ×4, first 2 shown]
.LBB1_5:                                ;   in Loop: Header=BB1_6 Depth=1
	s_waitcnt vmcnt(0) lgkmcnt(0)
	v_xor_b32_e32 v25, 0x80000000, v3
	v_cndmask_b32_e64 v3, v3, v25, s[10:11]
	v_cndmask_b32_e64 v2, v2, v2, s[10:11]
	v_xor_b32_e32 v25, 0x80000000, v7
	v_cndmask_b32_e64 v7, v7, v25, s[12:13]
	v_cndmask_b32_e64 v6, v6, v6, s[12:13]
	v_mfma_f64_16x16x4f64 v[46:53], v[0:1], v[4:5], 0
	s_add_i32 s44, s44, 4
	s_cmp_ge_i32 s44, s33
	v_add_u32_e32 v24, s40, v24
	v_add_u32_e32 v26, s41, v26
	;; [unrolled: 1-line block ×4, first 2 shown]
	v_mfma_f64_16x16x4f64 v[54:61], v[2:3], v[6:7], 0
	s_nop 7
	s_nop 2
	v_add_f64 v[60:61], v[52:53], -v[60:61]
	v_add_f64 v[58:59], v[50:51], -v[58:59]
	v_add_f64 v[56:57], v[48:49], -v[56:57]
	v_add_f64 v[54:55], v[46:47], -v[54:55]
	v_add_f64 v[20:21], v[20:21], v[54:55]
	v_add_f64 v[18:19], v[18:19], v[56:57]
	;; [unrolled: 1-line block ×4, first 2 shown]
	v_mfma_f64_16x16x4f64 v[46:53], v[0:1], v[6:7], 0
	v_mfma_f64_16x16x4f64 v[0:7], v[2:3], v[4:5], 0
	s_nop 7
	s_nop 2
	v_add_f64 v[6:7], v[52:53], v[6:7]
	v_add_f64 v[4:5], v[50:51], v[4:5]
	;; [unrolled: 1-line block ×8, first 2 shown]
	s_cbranch_scc1 .LBB1_28
.LBB1_6:                                ; =>This Inner Loop Header: Depth=1
	s_and_b64 vcc, exec, s[16:17]
	s_cbranch_vccz .LBB1_18
; %bb.7:                                ;   in Loop: Header=BB1_6 Depth=1
	v_pk_mov_b32 v[0:1], 0, 0
	s_mov_b64 s[30:31], 0
	v_pk_mov_b32 v[2:3], v[0:1], v[0:1] op_sel:[0,1]
	s_and_saveexec_b64 s[36:37], s[2:3]
	s_cbranch_execz .LBB1_11
; %bb.8:                                ;   in Loop: Header=BB1_6 Depth=1
	v_add_u32_e32 v0, s44, v33
	v_pk_mov_b32 v[2:3], 0, 0
	v_cmp_gt_i32_e32 vcc, s33, v0
	v_pk_mov_b32 v[0:1], v[2:3], v[2:3] op_sel:[0,1]
	s_and_saveexec_b64 s[38:39], vcc
	s_cbranch_execz .LBB1_10
; %bb.9:                                ;   in Loop: Header=BB1_6 Depth=1
	v_ashrrev_i32_e32 v27, 31, v26
	v_lshlrev_b64 v[0:1], 4, v[26:27]
	v_add_co_u32_e32 v0, vcc, v40, v0
	v_addc_co_u32_e32 v1, vcc, v41, v1, vcc
	global_load_dwordx4 v[0:3], v[0:1], off
.LBB1_10:                               ;   in Loop: Header=BB1_6 Depth=1
	s_or_b64 exec, exec, s[38:39]
.LBB1_11:                               ;   in Loop: Header=BB1_6 Depth=1
	s_or_b64 exec, exec, s[36:37]
	s_waitcnt vmcnt(0)
	ds_bpermute_b32 v0, v45, v0
	ds_bpermute_b32 v1, v45, v1
	;; [unrolled: 1-line block ×4, first 2 shown]
	s_and_b64 vcc, exec, s[30:31]
	s_cbranch_vccnz .LBB1_19
.LBB1_12:                               ;   in Loop: Header=BB1_6 Depth=1
	s_and_b64 vcc, exec, s[28:29]
	s_cbranch_vccz .LBB1_24
.LBB1_13:                               ;   in Loop: Header=BB1_6 Depth=1
	v_pk_mov_b32 v[6:7], 0, 0
	s_mov_b64 s[30:31], 0
	v_pk_mov_b32 v[4:5], v[6:7], v[6:7] op_sel:[0,1]
	s_and_saveexec_b64 s[36:37], s[14:15]
	s_cbranch_execz .LBB1_17
; %bb.14:                               ;   in Loop: Header=BB1_6 Depth=1
	v_add_u32_e32 v4, s44, v44
	v_pk_mov_b32 v[6:7], 0, 0
	v_cmp_gt_i32_e32 vcc, s33, v4
	v_pk_mov_b32 v[4:5], v[6:7], v[6:7] op_sel:[0,1]
	s_and_saveexec_b64 s[38:39], vcc
	s_cbranch_execz .LBB1_16
; %bb.15:                               ;   in Loop: Header=BB1_6 Depth=1
	v_ashrrev_i32_e32 v31, 31, v30
	v_lshlrev_b64 v[4:5], 4, v[30:31]
	v_add_co_u32_e32 v4, vcc, v42, v4
	v_addc_co_u32_e32 v5, vcc, v43, v5, vcc
	global_load_dwordx4 v[4:7], v[4:5], off
.LBB1_16:                               ;   in Loop: Header=BB1_6 Depth=1
	s_or_b64 exec, exec, s[38:39]
.LBB1_17:                               ;   in Loop: Header=BB1_6 Depth=1
	s_or_b64 exec, exec, s[36:37]
	s_andn2_b64 vcc, exec, s[30:31]
	s_cbranch_vccnz .LBB1_5
	s_branch .LBB1_25
.LBB1_18:                               ;   in Loop: Header=BB1_6 Depth=1
                                        ; implicit-def: $vgpr2_vgpr3
	s_cbranch_execz .LBB1_12
.LBB1_19:                               ;   in Loop: Header=BB1_6 Depth=1
	s_waitcnt lgkmcnt(0)
	v_pk_mov_b32 v[2:3], 0, 0
	v_pk_mov_b32 v[0:1], v[2:3], v[2:3] op_sel:[0,1]
	s_and_saveexec_b64 s[30:31], s[6:7]
	s_cbranch_execz .LBB1_23
; %bb.20:                               ;   in Loop: Header=BB1_6 Depth=1
	v_add_u32_e32 v0, s44, v44
	v_pk_mov_b32 v[2:3], 0, 0
	v_cmp_gt_i32_e32 vcc, s33, v0
	v_pk_mov_b32 v[0:1], v[2:3], v[2:3] op_sel:[0,1]
	s_and_saveexec_b64 s[36:37], vcc
	s_cbranch_execz .LBB1_22
; %bb.21:                               ;   in Loop: Header=BB1_6 Depth=1
	v_ashrrev_i32_e32 v25, 31, v24
	v_lshlrev_b64 v[0:1], 4, v[24:25]
	v_add_co_u32_e32 v0, vcc, v40, v0
	v_addc_co_u32_e32 v1, vcc, v41, v1, vcc
	global_load_dwordx4 v[0:3], v[0:1], off
.LBB1_22:                               ;   in Loop: Header=BB1_6 Depth=1
	s_or_b64 exec, exec, s[36:37]
.LBB1_23:                               ;   in Loop: Header=BB1_6 Depth=1
	s_or_b64 exec, exec, s[30:31]
	s_and_b64 vcc, exec, s[28:29]
	s_cbranch_vccnz .LBB1_13
.LBB1_24:                               ;   in Loop: Header=BB1_6 Depth=1
                                        ; implicit-def: $vgpr6_vgpr7
.LBB1_25:                               ;   in Loop: Header=BB1_6 Depth=1
	s_waitcnt vmcnt(0)
	v_pk_mov_b32 v[4:5], 0, 0
	v_pk_mov_b32 v[6:7], v[4:5], v[4:5] op_sel:[0,1]
	s_and_saveexec_b64 s[30:31], s[0:1]
	s_cbranch_execz .LBB1_4
; %bb.26:                               ;   in Loop: Header=BB1_6 Depth=1
	v_add_u32_e32 v4, s44, v33
	v_pk_mov_b32 v[6:7], 0, 0
	v_cmp_gt_i32_e32 vcc, s33, v4
	v_pk_mov_b32 v[4:5], v[6:7], v[6:7] op_sel:[0,1]
	s_and_saveexec_b64 s[36:37], vcc
	s_cbranch_execz .LBB1_3
; %bb.27:                               ;   in Loop: Header=BB1_6 Depth=1
	v_ashrrev_i32_e32 v29, 31, v28
	v_lshlrev_b64 v[4:5], 4, v[28:29]
	v_add_co_u32_e32 v4, vcc, v42, v4
	v_addc_co_u32_e32 v5, vcc, v43, v5, vcc
	global_load_dwordx4 v[4:7], v[4:5], off
	s_branch .LBB1_3
.LBB1_28:
	s_load_dwordx4 s[4:7], s[4:5], 0x88
	s_waitcnt lgkmcnt(0)
	s_mul_i32 s1, s8, s7
	s_mul_hi_u32 s2, s8, s6
	s_mul_i32 s3, s9, s6
	s_add_i32 s1, s2, s1
	s_mul_i32 s0, s8, s6
	s_add_i32 s1, s1, s3
	s_lshl_b64 s[0:1], s[0:1], 4
	s_add_u32 s2, s22, s0
	s_addc_u32 s3, s23, s1
	s_lshl_b64 s[0:1], s[34:35], 4
	s_add_u32 s2, s2, s0
	v_mul_lo_u32 v0, v36, s4
	s_addc_u32 s3, s3, s1
	v_mad_u64_u32 v[0:1], s[0:1], v37, s5, v[0:1]
	v_ashrrev_i32_e32 v1, 31, v0
	v_lshlrev_b64 v[2:3], 4, v[0:1]
	v_mov_b32_e32 v0, s3
	v_add_co_u32_e32 v1, vcc, s2, v2
	v_addc_co_u32_e32 v6, vcc, v0, v3, vcc
	v_lshlrev_b32_e32 v0, 4, v34
	v_mbcnt_hi_u32_b32 v2, -1, v39
	v_and_b32_e32 v0, 48, v0
	v_and_b32_e32 v2, 64, v2
	v_or3_b32 v0, v0, v2, v38
	v_lshlrev_b32_e32 v7, 2, v0
	ds_bpermute_b32 v2, v7, v20
	ds_bpermute_b32 v3, v7, v21
	;; [unrolled: 1-line block ×4, first 2 shown]
	v_cmp_lt_i32_e32 vcc, v38, v35
	v_cmp_lt_i32_e64 s[0:1], v33, v32
	v_mul_lo_u32 v0, v38, s5
	s_and_b64 s[0:1], vcc, s[0:1]
	s_and_saveexec_b64 s[2:3], s[0:1]
	s_cbranch_execz .LBB1_30
; %bb.29:
	v_mad_u64_u32 v[20:21], s[0:1], v33, s4, v[0:1]
	v_ashrrev_i32_e32 v21, 31, v20
	v_lshlrev_b64 v[20:21], 4, v[20:21]
	v_add_co_u32_e64 v24, s[0:1], v1, v20
	v_addc_co_u32_e64 v25, s[0:1], v6, v21, s[0:1]
	global_load_dwordx4 v[20:23], v[24:25], off
	s_waitcnt lgkmcnt(0)
	v_mul_f64 v[26:27], s[26:27], v[4:5]
	v_mul_f64 v[4:5], s[24:25], v[4:5]
	v_fma_f64 v[26:27], s[24:25], v[2:3], -v[26:27]
	v_fmac_f64_e32 v[4:5], s[26:27], v[2:3]
	s_waitcnt vmcnt(0)
	v_mul_f64 v[2:3], s[20:21], v[22:23]
	v_mul_f64 v[22:23], s[18:19], v[22:23]
	v_fma_f64 v[2:3], s[18:19], v[20:21], -v[2:3]
	v_fmac_f64_e32 v[22:23], s[20:21], v[20:21]
	v_add_f64 v[2:3], v[26:27], v[2:3]
	v_add_f64 v[4:5], v[4:5], v[22:23]
	global_store_dwordx4 v[24:25], v[2:5], off
.LBB1_30:
	s_or_b64 exec, exec, s[2:3]
	s_waitcnt lgkmcnt(3)
	ds_bpermute_b32 v2, v7, v18
	s_waitcnt lgkmcnt(3)
	ds_bpermute_b32 v3, v7, v19
	s_waitcnt lgkmcnt(3)
	ds_bpermute_b32 v4, v7, v16
	s_waitcnt lgkmcnt(3)
	ds_bpermute_b32 v5, v7, v17
	v_or_b32_e32 v16, 4, v33
	v_cmp_lt_i32_e64 s[0:1], v16, v32
	s_and_b64 s[0:1], vcc, s[0:1]
	s_and_saveexec_b64 s[2:3], s[0:1]
	s_cbranch_execz .LBB1_32
; %bb.31:
	v_mad_u64_u32 v[16:17], s[0:1], v16, s4, v[0:1]
	v_ashrrev_i32_e32 v17, 31, v16
	v_lshlrev_b64 v[16:17], 4, v[16:17]
	v_add_co_u32_e64 v20, s[0:1], v1, v16
	v_addc_co_u32_e64 v21, s[0:1], v6, v17, s[0:1]
	global_load_dwordx4 v[16:19], v[20:21], off
	s_waitcnt lgkmcnt(0)
	v_mul_f64 v[22:23], s[26:27], v[4:5]
	v_mul_f64 v[4:5], s[24:25], v[4:5]
	v_fma_f64 v[22:23], s[24:25], v[2:3], -v[22:23]
	v_fmac_f64_e32 v[4:5], s[26:27], v[2:3]
	s_waitcnt vmcnt(0)
	v_mul_f64 v[2:3], s[20:21], v[18:19]
	v_mul_f64 v[18:19], s[18:19], v[18:19]
	v_fma_f64 v[2:3], s[18:19], v[16:17], -v[2:3]
	v_fmac_f64_e32 v[18:19], s[20:21], v[16:17]
	v_add_f64 v[2:3], v[22:23], v[2:3]
	v_add_f64 v[4:5], v[4:5], v[18:19]
	global_store_dwordx4 v[20:21], v[2:5], off
.LBB1_32:
	s_or_b64 exec, exec, s[2:3]
	s_waitcnt lgkmcnt(3)
	ds_bpermute_b32 v2, v7, v14
	s_waitcnt lgkmcnt(3)
	ds_bpermute_b32 v3, v7, v15
	s_waitcnt lgkmcnt(3)
	ds_bpermute_b32 v4, v7, v12
	s_waitcnt lgkmcnt(3)
	ds_bpermute_b32 v5, v7, v13
	v_or_b32_e32 v12, 8, v33
	v_cmp_lt_i32_e64 s[0:1], v12, v32
	;; [unrolled: 35-line block ×3, first 2 shown]
	s_and_b64 s[0:1], vcc, s[0:1]
	s_and_b64 exec, exec, s[0:1]
	s_cbranch_execz .LBB1_36
; %bb.35:
	v_mad_u64_u32 v[8:9], s[0:1], v7, s4, v[0:1]
	v_ashrrev_i32_e32 v9, 31, v8
	v_lshlrev_b64 v[8:9], 4, v[8:9]
	v_add_co_u32_e32 v10, vcc, v1, v8
	v_addc_co_u32_e32 v11, vcc, v6, v9, vcc
	global_load_dwordx4 v[6:9], v[10:11], off
	s_waitcnt lgkmcnt(0)
	v_mul_f64 v[0:1], s[26:27], v[4:5]
	v_mul_f64 v[4:5], s[24:25], v[4:5]
	v_fma_f64 v[0:1], s[24:25], v[2:3], -v[0:1]
	v_fmac_f64_e32 v[4:5], s[26:27], v[2:3]
	s_waitcnt vmcnt(0)
	v_mul_f64 v[2:3], s[20:21], v[8:9]
	v_mul_f64 v[8:9], s[18:19], v[8:9]
	v_fma_f64 v[2:3], s[18:19], v[6:7], -v[2:3]
	v_fmac_f64_e32 v[8:9], s[20:21], v[6:7]
	v_add_f64 v[0:1], v[0:1], v[2:3]
	v_add_f64 v[2:3], v[4:5], v[8:9]
	global_store_dwordx4 v[10:11], v[0:3], off
.LBB1_36:
	s_endpgm
	.section	.rodata,"a",@progbits
	.p2align	6, 0x0
	.amdhsa_kernel _ZN9rocsolver6v33100L16mfma_gemm_kernelI19rocblas_complex_numIdEiS3_PS3_S4_S4_EEv18rocblas_operation_S5_T0_S6_S6_T1_T2_lS6_S6_lT3_lS6_S6_lS7_T4_lS6_S6_l
		.amdhsa_group_segment_fixed_size 0
		.amdhsa_private_segment_fixed_size 0
		.amdhsa_kernarg_size 408
		.amdhsa_user_sgpr_count 6
		.amdhsa_user_sgpr_private_segment_buffer 1
		.amdhsa_user_sgpr_dispatch_ptr 0
		.amdhsa_user_sgpr_queue_ptr 0
		.amdhsa_user_sgpr_kernarg_segment_ptr 1
		.amdhsa_user_sgpr_dispatch_id 0
		.amdhsa_user_sgpr_flat_scratch_init 0
		.amdhsa_user_sgpr_kernarg_preload_length 0
		.amdhsa_user_sgpr_kernarg_preload_offset 0
		.amdhsa_user_sgpr_private_segment_size 0
		.amdhsa_uses_dynamic_stack 0
		.amdhsa_system_sgpr_private_segment_wavefront_offset 0
		.amdhsa_system_sgpr_workgroup_id_x 1
		.amdhsa_system_sgpr_workgroup_id_y 1
		.amdhsa_system_sgpr_workgroup_id_z 1
		.amdhsa_system_sgpr_workgroup_info 0
		.amdhsa_system_vgpr_workitem_id 1
		.amdhsa_next_free_vgpr 62
		.amdhsa_next_free_sgpr 46
		.amdhsa_accum_offset 64
		.amdhsa_reserve_vcc 1
		.amdhsa_reserve_flat_scratch 0
		.amdhsa_float_round_mode_32 0
		.amdhsa_float_round_mode_16_64 0
		.amdhsa_float_denorm_mode_32 3
		.amdhsa_float_denorm_mode_16_64 3
		.amdhsa_dx10_clamp 1
		.amdhsa_ieee_mode 1
		.amdhsa_fp16_overflow 0
		.amdhsa_tg_split 0
		.amdhsa_exception_fp_ieee_invalid_op 0
		.amdhsa_exception_fp_denorm_src 0
		.amdhsa_exception_fp_ieee_div_zero 0
		.amdhsa_exception_fp_ieee_overflow 0
		.amdhsa_exception_fp_ieee_underflow 0
		.amdhsa_exception_fp_ieee_inexact 0
		.amdhsa_exception_int_div_zero 0
	.end_amdhsa_kernel
	.section	.text._ZN9rocsolver6v33100L16mfma_gemm_kernelI19rocblas_complex_numIdEiS3_PS3_S4_S4_EEv18rocblas_operation_S5_T0_S6_S6_T1_T2_lS6_S6_lT3_lS6_S6_lS7_T4_lS6_S6_l,"axG",@progbits,_ZN9rocsolver6v33100L16mfma_gemm_kernelI19rocblas_complex_numIdEiS3_PS3_S4_S4_EEv18rocblas_operation_S5_T0_S6_S6_T1_T2_lS6_S6_lT3_lS6_S6_lS7_T4_lS6_S6_l,comdat
.Lfunc_end1:
	.size	_ZN9rocsolver6v33100L16mfma_gemm_kernelI19rocblas_complex_numIdEiS3_PS3_S4_S4_EEv18rocblas_operation_S5_T0_S6_S6_T1_T2_lS6_S6_lT3_lS6_S6_lS7_T4_lS6_S6_l, .Lfunc_end1-_ZN9rocsolver6v33100L16mfma_gemm_kernelI19rocblas_complex_numIdEiS3_PS3_S4_S4_EEv18rocblas_operation_S5_T0_S6_S6_T1_T2_lS6_S6_lT3_lS6_S6_lS7_T4_lS6_S6_l
                                        ; -- End function
	.section	.AMDGPU.csdata,"",@progbits
; Kernel info:
; codeLenInByte = 2468
; NumSgprs: 50
; NumVgprs: 62
; NumAgprs: 0
; TotalNumVgprs: 62
; ScratchSize: 0
; MemoryBound: 1
; FloatMode: 240
; IeeeMode: 1
; LDSByteSize: 0 bytes/workgroup (compile time only)
; SGPRBlocks: 6
; VGPRBlocks: 7
; NumSGPRsForWavesPerEU: 50
; NumVGPRsForWavesPerEU: 62
; AccumOffset: 64
; Occupancy: 8
; WaveLimiterHint : 1
; COMPUTE_PGM_RSRC2:SCRATCH_EN: 0
; COMPUTE_PGM_RSRC2:USER_SGPR: 6
; COMPUTE_PGM_RSRC2:TRAP_HANDLER: 0
; COMPUTE_PGM_RSRC2:TGID_X_EN: 1
; COMPUTE_PGM_RSRC2:TGID_Y_EN: 1
; COMPUTE_PGM_RSRC2:TGID_Z_EN: 1
; COMPUTE_PGM_RSRC2:TIDIG_COMP_CNT: 1
; COMPUTE_PGM_RSRC3_GFX90A:ACCUM_OFFSET: 15
; COMPUTE_PGM_RSRC3_GFX90A:TG_SPLIT: 0
	.section	.text._ZN9rocsolver6v33100L11gemm_kernelI19rocblas_complex_numIdEiPKS3_PS3_S6_S6_EEvT0_S7_S7_T1_bT2_lS7_S7_lbT3_lS7_S7_lS8_T4_lS7_S7_l,"axG",@progbits,_ZN9rocsolver6v33100L11gemm_kernelI19rocblas_complex_numIdEiPKS3_PS3_S6_S6_EEvT0_S7_S7_T1_bT2_lS7_S7_lbT3_lS7_S7_lS8_T4_lS7_S7_l,comdat
	.globl	_ZN9rocsolver6v33100L11gemm_kernelI19rocblas_complex_numIdEiPKS3_PS3_S6_S6_EEvT0_S7_S7_T1_bT2_lS7_S7_lbT3_lS7_S7_lS8_T4_lS7_S7_l ; -- Begin function _ZN9rocsolver6v33100L11gemm_kernelI19rocblas_complex_numIdEiPKS3_PS3_S6_S6_EEvT0_S7_S7_T1_bT2_lS7_S7_lbT3_lS7_S7_lS8_T4_lS7_S7_l
	.p2align	8
	.type	_ZN9rocsolver6v33100L11gemm_kernelI19rocblas_complex_numIdEiPKS3_PS3_S6_S6_EEvT0_S7_S7_T1_bT2_lS7_S7_lbT3_lS7_S7_lS8_T4_lS7_S7_l,@function
_ZN9rocsolver6v33100L11gemm_kernelI19rocblas_complex_numIdEiPKS3_PS3_S6_S6_EEvT0_S7_S7_T1_bT2_lS7_S7_lbT3_lS7_S7_lS8_T4_lS7_S7_l: ; @_ZN9rocsolver6v33100L11gemm_kernelI19rocblas_complex_numIdEiPKS3_PS3_S6_S6_EEvT0_S7_S7_T1_bT2_lS7_S7_lbT3_lS7_S7_lS8_T4_lS7_S7_l
; %bb.0:
	s_load_dword s0, s[4:5], 0x9c
	s_load_dwordx4 s[28:31], s[4:5], 0x0
	v_and_b32_e32 v1, 0x3ff, v0
	v_bfe_u32 v0, v0, 10, 10
	s_waitcnt lgkmcnt(0)
	s_lshr_b32 s1, s0, 16
	s_and_b32 s0, s0, 0xffff
	s_mul_i32 s6, s6, s0
	s_mul_i32 s7, s7, s1
	v_add_u32_e32 v8, s6, v1
	v_add_u32_e32 v9, s7, v0
	v_cmp_gt_i32_e32 vcc, s28, v8
	v_cmp_gt_i32_e64 s[0:1], s29, v9
	s_and_b64 s[0:1], vcc, s[0:1]
	s_and_saveexec_b64 s[2:3], s[0:1]
	s_cbranch_execz .LBB2_5
; %bb.1:
	s_load_dwordx2 s[6:7], s[4:5], 0x10
	s_load_dwordx8 s[12:19], s[4:5], 0x60
	s_ashr_i32 s9, s8, 31
	v_pk_mov_b32 v[0:1], 0, 0
	s_cmp_lt_i32 s30, 1
	v_pk_mov_b32 v[2:3], v[0:1], v[0:1] op_sel:[0,1]
	s_cbranch_scc1 .LBB2_4
; %bb.2:
	s_load_dword s0, s[4:5], 0x18
	s_load_dwordx8 s[20:27], s[4:5], 0x20
	s_load_dword s1, s[4:5], 0x40
	s_load_dwordx4 s[36:39], s[4:5], 0x48
	s_load_dwordx2 s[28:29], s[4:5], 0x58
	s_waitcnt lgkmcnt(0)
	s_bitcmp1_b32 s0, 0
	s_cselect_b64 vcc, -1, 0
	s_bitcmp1_b32 s1, 0
	s_mul_i32 s2, s26, s9
	s_mul_hi_u32 s3, s26, s8
	s_cselect_b64 s[0:1], -1, 0
	s_add_i32 s2, s3, s2
	s_mul_i32 s3, s27, s8
	s_add_i32 s3, s2, s3
	s_mul_i32 s2, s26, s8
	s_lshl_b64 s[2:3], s[2:3], 4
	s_lshl_b64 s[10:11], s[22:23], 4
	s_add_u32 s2, s2, s10
	v_mul_lo_u32 v0, v8, s24
	s_addc_u32 s3, s3, s11
	v_ashrrev_i32_e32 v1, 31, v0
	s_add_u32 s2, s20, s2
	v_lshlrev_b64 v[0:1], 4, v[0:1]
	s_addc_u32 s3, s21, s3
	v_mov_b32_e32 v3, s3
	v_add_co_u32_e64 v0, s[2:3], s2, v0
	v_addc_co_u32_e64 v1, s[2:3], v3, v1, s[2:3]
	v_add_co_u32_e64 v4, s[2:3], 8, v0
	v_addc_co_u32_e64 v5, s[2:3], 0, v1, s[2:3]
	s_ashr_i32 s3, s25, 31
	s_mov_b32 s2, s25
	s_lshl_b64 s[10:11], s[2:3], 4
	s_mul_i32 s2, s12, s9
	s_mul_hi_u32 s3, s12, s8
	s_add_i32 s2, s3, s2
	s_mul_i32 s3, s13, s8
	s_add_i32 s3, s2, s3
	s_mul_i32 s2, s12, s8
	s_lshl_b64 s[2:3], s[2:3], 4
	s_lshl_b64 s[12:13], s[38:39], 4
	s_add_u32 s2, s2, s12
	v_mul_lo_u32 v2, v9, s29
	s_addc_u32 s3, s3, s13
	v_ashrrev_i32_e32 v3, 31, v2
	s_add_u32 s2, s36, s2
	v_lshlrev_b64 v[0:1], 4, v[2:3]
	s_addc_u32 s3, s37, s3
	v_mov_b32_e32 v2, s3
	v_add_co_u32_e64 v0, s[2:3], s2, v0
	v_addc_co_u32_e64 v1, s[2:3], v2, v1, s[2:3]
	v_add_co_u32_e64 v6, s[2:3], 8, v0
	s_ashr_i32 s29, s28, 31
	v_addc_co_u32_e64 v7, s[2:3], 0, v1, s[2:3]
	s_lshl_b64 s[12:13], s[28:29], 4
	v_pk_mov_b32 v[0:1], 0, 0
	v_mov_b32_e32 v10, s11
	v_mov_b32_e32 v11, s13
	v_pk_mov_b32 v[2:3], v[0:1], v[0:1] op_sel:[0,1]
.LBB2_3:                                ; =>This Inner Loop Header: Depth=1
	global_load_dwordx4 v[12:15], v[4:5], off offset:-8
	global_load_dwordx4 v[16:19], v[6:7], off offset:-8
	v_add_co_u32_e64 v4, s[2:3], s10, v4
	v_addc_co_u32_e64 v5, s[2:3], v5, v10, s[2:3]
	s_add_i32 s30, s30, -1
	v_add_co_u32_e64 v6, s[2:3], s12, v6
	v_addc_co_u32_e64 v7, s[2:3], v7, v11, s[2:3]
	s_cmp_eq_u32 s30, 0
	s_waitcnt vmcnt(1)
	v_xor_b32_e32 v20, 0x80000000, v15
	s_waitcnt vmcnt(0)
	v_xor_b32_e32 v21, 0x80000000, v19
	v_cndmask_b32_e32 v15, v15, v20, vcc
	v_cndmask_b32_e64 v19, v19, v21, s[0:1]
	v_mul_f64 v[20:21], v[14:15], v[18:19]
	v_mul_f64 v[14:15], v[14:15], v[16:17]
	v_fma_f64 v[16:17], v[12:13], v[16:17], -v[20:21]
	v_fmac_f64_e32 v[14:15], v[12:13], v[18:19]
	v_add_f64 v[2:3], v[2:3], v[16:17]
	v_add_f64 v[0:1], v[0:1], v[14:15]
	s_cbranch_scc0 .LBB2_3
.LBB2_4:
	s_waitcnt lgkmcnt(0)
	s_load_dwordx4 s[20:23], s[6:7], 0x0
	s_load_dwordx4 s[0:3], s[14:15], 0x0
                                        ; kill: killed $sgpr14_sgpr15
                                        ; kill: killed $sgpr6_sgpr7
	s_nop 0
	s_load_dwordx4 s[4:7], s[4:5], 0x80
	s_waitcnt lgkmcnt(0)
	v_mul_f64 v[10:11], s[22:23], v[0:1]
	v_mul_f64 v[12:13], s[20:21], v[0:1]
	v_fma_f64 v[0:1], s[20:21], v[2:3], -v[10:11]
	v_fmac_f64_e32 v[12:13], s[22:23], v[2:3]
	s_mul_i32 s7, s8, s7
	s_mul_hi_u32 s10, s8, s6
	s_mul_i32 s9, s9, s6
	s_add_i32 s7, s10, s7
	s_mul_i32 s6, s8, s6
	s_add_i32 s7, s7, s9
	s_lshl_b64 s[6:7], s[6:7], 4
	s_add_u32 s8, s16, s6
	v_mul_lo_u32 v4, v8, s4
	s_addc_u32 s9, s17, s7
	s_lshl_b64 s[6:7], s[18:19], 4
	v_mad_u64_u32 v[4:5], s[4:5], v9, s5, v[4:5]
	s_add_u32 s6, s8, s6
	v_ashrrev_i32_e32 v5, 31, v4
	s_addc_u32 s7, s9, s7
	v_lshlrev_b64 v[4:5], 4, v[4:5]
	v_mov_b32_e32 v6, s7
	v_add_co_u32_e32 v8, vcc, s6, v4
	v_addc_co_u32_e32 v9, vcc, v6, v5, vcc
	global_load_dwordx4 v[4:7], v[8:9], off
	s_waitcnt vmcnt(0)
	v_mul_f64 v[2:3], s[2:3], v[6:7]
	v_mul_f64 v[6:7], s[0:1], v[6:7]
	v_fma_f64 v[2:3], s[0:1], v[4:5], -v[2:3]
	v_fmac_f64_e32 v[6:7], s[2:3], v[4:5]
	v_add_f64 v[0:1], v[0:1], v[2:3]
	v_add_f64 v[2:3], v[12:13], v[6:7]
	global_store_dwordx4 v[8:9], v[0:3], off
.LBB2_5:
	s_endpgm
	.section	.rodata,"a",@progbits
	.p2align	6, 0x0
	.amdhsa_kernel _ZN9rocsolver6v33100L11gemm_kernelI19rocblas_complex_numIdEiPKS3_PS3_S6_S6_EEvT0_S7_S7_T1_bT2_lS7_S7_lbT3_lS7_S7_lS8_T4_lS7_S7_l
		.amdhsa_group_segment_fixed_size 0
		.amdhsa_private_segment_fixed_size 0
		.amdhsa_kernarg_size 400
		.amdhsa_user_sgpr_count 6
		.amdhsa_user_sgpr_private_segment_buffer 1
		.amdhsa_user_sgpr_dispatch_ptr 0
		.amdhsa_user_sgpr_queue_ptr 0
		.amdhsa_user_sgpr_kernarg_segment_ptr 1
		.amdhsa_user_sgpr_dispatch_id 0
		.amdhsa_user_sgpr_flat_scratch_init 0
		.amdhsa_user_sgpr_kernarg_preload_length 0
		.amdhsa_user_sgpr_kernarg_preload_offset 0
		.amdhsa_user_sgpr_private_segment_size 0
		.amdhsa_uses_dynamic_stack 0
		.amdhsa_system_sgpr_private_segment_wavefront_offset 0
		.amdhsa_system_sgpr_workgroup_id_x 1
		.amdhsa_system_sgpr_workgroup_id_y 1
		.amdhsa_system_sgpr_workgroup_id_z 1
		.amdhsa_system_sgpr_workgroup_info 0
		.amdhsa_system_vgpr_workitem_id 1
		.amdhsa_next_free_vgpr 22
		.amdhsa_next_free_sgpr 40
		.amdhsa_accum_offset 24
		.amdhsa_reserve_vcc 1
		.amdhsa_reserve_flat_scratch 0
		.amdhsa_float_round_mode_32 0
		.amdhsa_float_round_mode_16_64 0
		.amdhsa_float_denorm_mode_32 3
		.amdhsa_float_denorm_mode_16_64 3
		.amdhsa_dx10_clamp 1
		.amdhsa_ieee_mode 1
		.amdhsa_fp16_overflow 0
		.amdhsa_tg_split 0
		.amdhsa_exception_fp_ieee_invalid_op 0
		.amdhsa_exception_fp_denorm_src 0
		.amdhsa_exception_fp_ieee_div_zero 0
		.amdhsa_exception_fp_ieee_overflow 0
		.amdhsa_exception_fp_ieee_underflow 0
		.amdhsa_exception_fp_ieee_inexact 0
		.amdhsa_exception_int_div_zero 0
	.end_amdhsa_kernel
	.section	.text._ZN9rocsolver6v33100L11gemm_kernelI19rocblas_complex_numIdEiPKS3_PS3_S6_S6_EEvT0_S7_S7_T1_bT2_lS7_S7_lbT3_lS7_S7_lS8_T4_lS7_S7_l,"axG",@progbits,_ZN9rocsolver6v33100L11gemm_kernelI19rocblas_complex_numIdEiPKS3_PS3_S6_S6_EEvT0_S7_S7_T1_bT2_lS7_S7_lbT3_lS7_S7_lS8_T4_lS7_S7_l,comdat
.Lfunc_end2:
	.size	_ZN9rocsolver6v33100L11gemm_kernelI19rocblas_complex_numIdEiPKS3_PS3_S6_S6_EEvT0_S7_S7_T1_bT2_lS7_S7_lbT3_lS7_S7_lS8_T4_lS7_S7_l, .Lfunc_end2-_ZN9rocsolver6v33100L11gemm_kernelI19rocblas_complex_numIdEiPKS3_PS3_S6_S6_EEvT0_S7_S7_T1_bT2_lS7_S7_lbT3_lS7_S7_lS8_T4_lS7_S7_l
                                        ; -- End function
	.section	.AMDGPU.csdata,"",@progbits
; Kernel info:
; codeLenInByte = 804
; NumSgprs: 44
; NumVgprs: 22
; NumAgprs: 0
; TotalNumVgprs: 22
; ScratchSize: 0
; MemoryBound: 0
; FloatMode: 240
; IeeeMode: 1
; LDSByteSize: 0 bytes/workgroup (compile time only)
; SGPRBlocks: 5
; VGPRBlocks: 2
; NumSGPRsForWavesPerEU: 44
; NumVGPRsForWavesPerEU: 22
; AccumOffset: 24
; Occupancy: 8
; WaveLimiterHint : 1
; COMPUTE_PGM_RSRC2:SCRATCH_EN: 0
; COMPUTE_PGM_RSRC2:USER_SGPR: 6
; COMPUTE_PGM_RSRC2:TRAP_HANDLER: 0
; COMPUTE_PGM_RSRC2:TGID_X_EN: 1
; COMPUTE_PGM_RSRC2:TGID_Y_EN: 1
; COMPUTE_PGM_RSRC2:TGID_Z_EN: 1
; COMPUTE_PGM_RSRC2:TIDIG_COMP_CNT: 1
; COMPUTE_PGM_RSRC3_GFX90A:ACCUM_OFFSET: 5
; COMPUTE_PGM_RSRC3_GFX90A:TG_SPLIT: 0
	.section	.text._ZN9rocsolver6v33100L11gemm_kernelI19rocblas_complex_numIdEiS3_PS3_S4_S4_EEvT0_S5_S5_T1_bT2_lS5_S5_lbT3_lS5_S5_lS6_T4_lS5_S5_l,"axG",@progbits,_ZN9rocsolver6v33100L11gemm_kernelI19rocblas_complex_numIdEiS3_PS3_S4_S4_EEvT0_S5_S5_T1_bT2_lS5_S5_lbT3_lS5_S5_lS6_T4_lS5_S5_l,comdat
	.globl	_ZN9rocsolver6v33100L11gemm_kernelI19rocblas_complex_numIdEiS3_PS3_S4_S4_EEvT0_S5_S5_T1_bT2_lS5_S5_lbT3_lS5_S5_lS6_T4_lS5_S5_l ; -- Begin function _ZN9rocsolver6v33100L11gemm_kernelI19rocblas_complex_numIdEiS3_PS3_S4_S4_EEvT0_S5_S5_T1_bT2_lS5_S5_lbT3_lS5_S5_lS6_T4_lS5_S5_l
	.p2align	8
	.type	_ZN9rocsolver6v33100L11gemm_kernelI19rocblas_complex_numIdEiS3_PS3_S4_S4_EEvT0_S5_S5_T1_bT2_lS5_S5_lbT3_lS5_S5_lS6_T4_lS5_S5_l,@function
_ZN9rocsolver6v33100L11gemm_kernelI19rocblas_complex_numIdEiS3_PS3_S4_S4_EEvT0_S5_S5_T1_bT2_lS5_S5_lbT3_lS5_S5_lS6_T4_lS5_S5_l: ; @_ZN9rocsolver6v33100L11gemm_kernelI19rocblas_complex_numIdEiS3_PS3_S4_S4_EEvT0_S5_S5_T1_bT2_lS5_S5_lbT3_lS5_S5_lS6_T4_lS5_S5_l
; %bb.0:
	s_load_dword s0, s[4:5], 0xac
	s_load_dwordx4 s[28:31], s[4:5], 0x0
	v_and_b32_e32 v1, 0x3ff, v0
	v_bfe_u32 v0, v0, 10, 10
	s_waitcnt lgkmcnt(0)
	s_lshr_b32 s1, s0, 16
	s_and_b32 s0, s0, 0xffff
	s_mul_i32 s6, s6, s0
	s_mul_i32 s7, s7, s1
	v_add_u32_e32 v8, s6, v1
	v_add_u32_e32 v9, s7, v0
	v_cmp_gt_i32_e32 vcc, s28, v8
	v_cmp_gt_i32_e64 s[0:1], s29, v9
	s_and_b64 s[0:1], vcc, s[0:1]
	s_and_saveexec_b64 s[2:3], s[0:1]
	s_cbranch_execz .LBB3_5
; %bb.1:
	s_load_dwordx2 s[6:7], s[4:5], 0x88
	s_load_dwordx8 s[12:19], s[4:5], 0x68
	s_ashr_i32 s9, s8, 31
	v_pk_mov_b32 v[0:1], 0, 0
	s_cmp_lt_i32 s30, 1
	v_pk_mov_b32 v[2:3], v[0:1], v[0:1] op_sel:[0,1]
	s_cbranch_scc1 .LBB3_4
; %bb.2:
	s_load_dword s0, s[4:5], 0x20
	s_load_dwordx8 s[20:27], s[4:5], 0x28
	s_load_dword s1, s[4:5], 0x48
	s_load_dwordx4 s[36:39], s[4:5], 0x50
	s_load_dwordx2 s[28:29], s[4:5], 0x60
	s_waitcnt lgkmcnt(0)
	s_bitcmp1_b32 s0, 0
	s_cselect_b64 vcc, -1, 0
	s_bitcmp1_b32 s1, 0
	s_mul_i32 s2, s26, s9
	s_mul_hi_u32 s3, s26, s8
	s_cselect_b64 s[0:1], -1, 0
	s_add_i32 s2, s3, s2
	s_mul_i32 s3, s27, s8
	s_add_i32 s3, s2, s3
	s_mul_i32 s2, s26, s8
	s_lshl_b64 s[2:3], s[2:3], 4
	s_lshl_b64 s[10:11], s[22:23], 4
	s_add_u32 s2, s2, s10
	v_mul_lo_u32 v0, v8, s24
	s_addc_u32 s3, s3, s11
	v_ashrrev_i32_e32 v1, 31, v0
	s_add_u32 s2, s20, s2
	v_lshlrev_b64 v[0:1], 4, v[0:1]
	s_addc_u32 s3, s21, s3
	v_mov_b32_e32 v3, s3
	v_add_co_u32_e64 v0, s[2:3], s2, v0
	v_addc_co_u32_e64 v1, s[2:3], v3, v1, s[2:3]
	v_add_co_u32_e64 v4, s[2:3], 8, v0
	v_addc_co_u32_e64 v5, s[2:3], 0, v1, s[2:3]
	s_ashr_i32 s3, s25, 31
	s_mov_b32 s2, s25
	s_lshl_b64 s[10:11], s[2:3], 4
	s_mul_i32 s2, s12, s9
	s_mul_hi_u32 s3, s12, s8
	s_add_i32 s2, s3, s2
	s_mul_i32 s3, s13, s8
	s_add_i32 s3, s2, s3
	s_mul_i32 s2, s12, s8
	s_lshl_b64 s[2:3], s[2:3], 4
	s_lshl_b64 s[12:13], s[38:39], 4
	s_add_u32 s2, s2, s12
	v_mul_lo_u32 v2, v9, s29
	s_addc_u32 s3, s3, s13
	v_ashrrev_i32_e32 v3, 31, v2
	s_add_u32 s2, s36, s2
	v_lshlrev_b64 v[0:1], 4, v[2:3]
	s_addc_u32 s3, s37, s3
	v_mov_b32_e32 v2, s3
	v_add_co_u32_e64 v0, s[2:3], s2, v0
	v_addc_co_u32_e64 v1, s[2:3], v2, v1, s[2:3]
	v_add_co_u32_e64 v6, s[2:3], 8, v0
	s_ashr_i32 s29, s28, 31
	v_addc_co_u32_e64 v7, s[2:3], 0, v1, s[2:3]
	s_lshl_b64 s[12:13], s[28:29], 4
	v_pk_mov_b32 v[0:1], 0, 0
	v_mov_b32_e32 v10, s11
	v_mov_b32_e32 v11, s13
	v_pk_mov_b32 v[2:3], v[0:1], v[0:1] op_sel:[0,1]
.LBB3_3:                                ; =>This Inner Loop Header: Depth=1
	global_load_dwordx4 v[12:15], v[4:5], off offset:-8
	global_load_dwordx4 v[16:19], v[6:7], off offset:-8
	v_add_co_u32_e64 v4, s[2:3], s10, v4
	v_addc_co_u32_e64 v5, s[2:3], v5, v10, s[2:3]
	s_add_i32 s30, s30, -1
	v_add_co_u32_e64 v6, s[2:3], s12, v6
	v_addc_co_u32_e64 v7, s[2:3], v7, v11, s[2:3]
	s_cmp_eq_u32 s30, 0
	s_waitcnt vmcnt(1)
	v_xor_b32_e32 v20, 0x80000000, v15
	s_waitcnt vmcnt(0)
	v_xor_b32_e32 v21, 0x80000000, v19
	v_cndmask_b32_e32 v15, v15, v20, vcc
	v_cndmask_b32_e64 v19, v19, v21, s[0:1]
	v_mul_f64 v[20:21], v[14:15], v[18:19]
	v_mul_f64 v[14:15], v[14:15], v[16:17]
	v_fma_f64 v[16:17], v[12:13], v[16:17], -v[20:21]
	v_fmac_f64_e32 v[14:15], v[12:13], v[18:19]
	v_add_f64 v[2:3], v[2:3], v[16:17]
	v_add_f64 v[0:1], v[0:1], v[14:15]
	s_cbranch_scc0 .LBB3_3
.LBB3_4:
	s_load_dwordx4 s[0:3], s[4:5], 0x10
	s_load_dwordx4 s[20:23], s[4:5], 0x90
	s_waitcnt lgkmcnt(0)
	v_mul_f64 v[10:11], s[2:3], v[0:1]
	s_mul_i32 s5, s8, s23
	s_mul_hi_u32 s10, s8, s22
	s_mul_i32 s9, s9, s22
	s_add_i32 s5, s10, s5
	s_mul_i32 s4, s8, s22
	s_add_i32 s5, s5, s9
	s_lshl_b64 s[4:5], s[4:5], 4
	s_add_u32 s8, s18, s4
	s_addc_u32 s9, s19, s5
	s_lshl_b64 s[4:5], s[6:7], 4
	s_add_u32 s6, s8, s4
	v_mul_lo_u32 v4, v8, s20
	s_addc_u32 s7, s9, s5
	v_mad_u64_u32 v[4:5], s[4:5], v9, s21, v[4:5]
	v_ashrrev_i32_e32 v5, 31, v4
	v_lshlrev_b64 v[4:5], 4, v[4:5]
	v_mov_b32_e32 v6, s7
	v_add_co_u32_e32 v8, vcc, s6, v4
	v_addc_co_u32_e32 v9, vcc, v6, v5, vcc
	global_load_dwordx4 v[4:7], v[8:9], off
	v_mul_f64 v[12:13], s[0:1], v[0:1]
	v_fma_f64 v[0:1], s[0:1], v[2:3], -v[10:11]
	v_fmac_f64_e32 v[12:13], s[2:3], v[2:3]
	s_waitcnt vmcnt(0)
	v_mul_f64 v[2:3], s[16:17], v[6:7]
	v_mul_f64 v[6:7], s[14:15], v[6:7]
	v_fma_f64 v[2:3], s[14:15], v[4:5], -v[2:3]
	v_fmac_f64_e32 v[6:7], s[16:17], v[4:5]
	v_add_f64 v[0:1], v[0:1], v[2:3]
	v_add_f64 v[2:3], v[12:13], v[6:7]
	global_store_dwordx4 v[8:9], v[0:3], off
.LBB3_5:
	s_endpgm
	.section	.rodata,"a",@progbits
	.p2align	6, 0x0
	.amdhsa_kernel _ZN9rocsolver6v33100L11gemm_kernelI19rocblas_complex_numIdEiS3_PS3_S4_S4_EEvT0_S5_S5_T1_bT2_lS5_S5_lbT3_lS5_S5_lS6_T4_lS5_S5_l
		.amdhsa_group_segment_fixed_size 0
		.amdhsa_private_segment_fixed_size 0
		.amdhsa_kernarg_size 416
		.amdhsa_user_sgpr_count 6
		.amdhsa_user_sgpr_private_segment_buffer 1
		.amdhsa_user_sgpr_dispatch_ptr 0
		.amdhsa_user_sgpr_queue_ptr 0
		.amdhsa_user_sgpr_kernarg_segment_ptr 1
		.amdhsa_user_sgpr_dispatch_id 0
		.amdhsa_user_sgpr_flat_scratch_init 0
		.amdhsa_user_sgpr_kernarg_preload_length 0
		.amdhsa_user_sgpr_kernarg_preload_offset 0
		.amdhsa_user_sgpr_private_segment_size 0
		.amdhsa_uses_dynamic_stack 0
		.amdhsa_system_sgpr_private_segment_wavefront_offset 0
		.amdhsa_system_sgpr_workgroup_id_x 1
		.amdhsa_system_sgpr_workgroup_id_y 1
		.amdhsa_system_sgpr_workgroup_id_z 1
		.amdhsa_system_sgpr_workgroup_info 0
		.amdhsa_system_vgpr_workitem_id 1
		.amdhsa_next_free_vgpr 22
		.amdhsa_next_free_sgpr 40
		.amdhsa_accum_offset 24
		.amdhsa_reserve_vcc 1
		.amdhsa_reserve_flat_scratch 0
		.amdhsa_float_round_mode_32 0
		.amdhsa_float_round_mode_16_64 0
		.amdhsa_float_denorm_mode_32 3
		.amdhsa_float_denorm_mode_16_64 3
		.amdhsa_dx10_clamp 1
		.amdhsa_ieee_mode 1
		.amdhsa_fp16_overflow 0
		.amdhsa_tg_split 0
		.amdhsa_exception_fp_ieee_invalid_op 0
		.amdhsa_exception_fp_denorm_src 0
		.amdhsa_exception_fp_ieee_div_zero 0
		.amdhsa_exception_fp_ieee_overflow 0
		.amdhsa_exception_fp_ieee_underflow 0
		.amdhsa_exception_fp_ieee_inexact 0
		.amdhsa_exception_int_div_zero 0
	.end_amdhsa_kernel
	.section	.text._ZN9rocsolver6v33100L11gemm_kernelI19rocblas_complex_numIdEiS3_PS3_S4_S4_EEvT0_S5_S5_T1_bT2_lS5_S5_lbT3_lS5_S5_lS6_T4_lS5_S5_l,"axG",@progbits,_ZN9rocsolver6v33100L11gemm_kernelI19rocblas_complex_numIdEiS3_PS3_S4_S4_EEvT0_S5_S5_T1_bT2_lS5_S5_lbT3_lS5_S5_lS6_T4_lS5_S5_l,comdat
.Lfunc_end3:
	.size	_ZN9rocsolver6v33100L11gemm_kernelI19rocblas_complex_numIdEiS3_PS3_S4_S4_EEvT0_S5_S5_T1_bT2_lS5_S5_lbT3_lS5_S5_lS6_T4_lS5_S5_l, .Lfunc_end3-_ZN9rocsolver6v33100L11gemm_kernelI19rocblas_complex_numIdEiS3_PS3_S4_S4_EEvT0_S5_S5_T1_bT2_lS5_S5_lbT3_lS5_S5_lS6_T4_lS5_S5_l
                                        ; -- End function
	.section	.AMDGPU.csdata,"",@progbits
; Kernel info:
; codeLenInByte = 788
; NumSgprs: 44
; NumVgprs: 22
; NumAgprs: 0
; TotalNumVgprs: 22
; ScratchSize: 0
; MemoryBound: 0
; FloatMode: 240
; IeeeMode: 1
; LDSByteSize: 0 bytes/workgroup (compile time only)
; SGPRBlocks: 5
; VGPRBlocks: 2
; NumSGPRsForWavesPerEU: 44
; NumVGPRsForWavesPerEU: 22
; AccumOffset: 24
; Occupancy: 8
; WaveLimiterHint : 1
; COMPUTE_PGM_RSRC2:SCRATCH_EN: 0
; COMPUTE_PGM_RSRC2:USER_SGPR: 6
; COMPUTE_PGM_RSRC2:TRAP_HANDLER: 0
; COMPUTE_PGM_RSRC2:TGID_X_EN: 1
; COMPUTE_PGM_RSRC2:TGID_Y_EN: 1
; COMPUTE_PGM_RSRC2:TGID_Z_EN: 1
; COMPUTE_PGM_RSRC2:TIDIG_COMP_CNT: 1
; COMPUTE_PGM_RSRC3_GFX90A:ACCUM_OFFSET: 5
; COMPUTE_PGM_RSRC3_GFX90A:TG_SPLIT: 0
	.section	.text._ZN9rocsolver6v33100L16mfma_gemm_kernelI19rocblas_complex_numIdEiPKS3_PKPS3_S8_S8_EEv18rocblas_operation_S9_T0_SA_SA_T1_T2_lSA_SA_lT3_lSA_SA_lSB_T4_lSA_SA_l,"axG",@progbits,_ZN9rocsolver6v33100L16mfma_gemm_kernelI19rocblas_complex_numIdEiPKS3_PKPS3_S8_S8_EEv18rocblas_operation_S9_T0_SA_SA_T1_T2_lSA_SA_lT3_lSA_SA_lSB_T4_lSA_SA_l,comdat
	.globl	_ZN9rocsolver6v33100L16mfma_gemm_kernelI19rocblas_complex_numIdEiPKS3_PKPS3_S8_S8_EEv18rocblas_operation_S9_T0_SA_SA_T1_T2_lSA_SA_lT3_lSA_SA_lSB_T4_lSA_SA_l ; -- Begin function _ZN9rocsolver6v33100L16mfma_gemm_kernelI19rocblas_complex_numIdEiPKS3_PKPS3_S8_S8_EEv18rocblas_operation_S9_T0_SA_SA_T1_T2_lSA_SA_lT3_lSA_SA_lSB_T4_lSA_SA_l
	.p2align	8
	.type	_ZN9rocsolver6v33100L16mfma_gemm_kernelI19rocblas_complex_numIdEiPKS3_PKPS3_S8_S8_EEv18rocblas_operation_S9_T0_SA_SA_T1_T2_lSA_SA_lT3_lSA_SA_lSB_T4_lSA_SA_l,@function
_ZN9rocsolver6v33100L16mfma_gemm_kernelI19rocblas_complex_numIdEiPKS3_PKPS3_S8_S8_EEv18rocblas_operation_S9_T0_SA_SA_T1_T2_lSA_SA_lT3_lSA_SA_lSB_T4_lSA_SA_l: ; @_ZN9rocsolver6v33100L16mfma_gemm_kernelI19rocblas_complex_numIdEiPKS3_PKPS3_S8_S8_EEv18rocblas_operation_S9_T0_SA_SA_T1_T2_lSA_SA_lT3_lSA_SA_lSB_T4_lSA_SA_l
; %bb.0:
	s_load_dword s0, s[4:5], 0x94
	s_load_dwordx4 s[12:15], s[4:5], 0x0
	v_and_b32_e32 v34, 0x3ff, v0
	v_bfe_u32 v0, v0, 10, 10
	v_lshrrev_b32_e32 v1, 6, v34
	s_waitcnt lgkmcnt(0)
	s_lshr_b32 s1, s0, 16
	s_bfe_u32 s0, s0, 0xa0006
	s_mul_i32 s7, s7, s1
	s_mul_i32 s6, s6, s0
	v_add_u32_e32 v0, s7, v0
	v_add_lshl_u32 v35, s6, v1, 4
	v_lshlrev_b32_e32 v36, 4, v0
	v_cmp_gt_i32_e32 vcc, s14, v35
	v_cmp_gt_i32_e64 s[0:1], s15, v36
	s_and_b64 s[0:1], vcc, s[0:1]
	s_and_saveexec_b64 s[2:3], s[0:1]
	s_cbranch_execz .LBB4_36
; %bb.1:
	s_ashr_i32 s6, s14, 31
	s_lshr_b32 s6, s6, 28
	s_add_i32 s6, s14, s6
	s_and_b32 s6, s6, -16
	s_sub_i32 s6, s14, s6
	v_mov_b32_e32 v1, s6
	s_ashr_i32 s6, s15, 31
	s_load_dword s33, s[4:5], 0x10
	s_load_dwordx4 s[0:3], s[4:5], 0x18
	s_load_dwordx2 s[28:29], s[4:5], 0x70
	s_load_dwordx4 s[24:27], s[4:5], 0x60
	s_lshr_b32 s6, s6, 28
	s_add_i32 s6, s15, s6
	v_add_u32_e32 v0, 16, v35
	s_and_b32 s6, s6, -16
	v_cmp_lt_i32_e32 vcc, s14, v0
	s_sub_i32 s6, s15, s6
	s_ashr_i32 s9, s8, 31
	v_cndmask_b32_e32 v32, 16, v1, vcc
	v_mov_b32_e32 v1, s6
	s_lshl_b64 s[6:7], s[8:9], 3
	s_waitcnt lgkmcnt(0)
	s_load_dwordx4 s[20:23], s[0:1], 0x0
	s_load_dwordx4 s[16:19], s[24:25], 0x0
	s_add_u32 s0, s26, s6
	v_add_u32_e32 v0, 16, v36
	s_addc_u32 s1, s27, s7
	v_cmp_lt_i32_e32 vcc, s15, v0
	s_load_dwordx2 s[14:15], s[0:1], 0x0
	v_cndmask_b32_e32 v37, 16, v1, vcc
	v_bfe_u32 v38, v34, 2, 4
	v_pk_mov_b32 v[20:21], 0, 0
	v_and_b32_e32 v33, 3, v34
	s_cmp_lt_i32 s33, 1
	v_cmp_lt_i32_e64 s[0:1], v38, v37
	v_mbcnt_lo_u32_b32 v39, -1, 0
	v_pk_mov_b32 v[22:23], v[20:21], v[20:21] op_sel:[0,1]
	v_pk_mov_b32 v[8:9], v[20:21], v[20:21] op_sel:[0,1]
	;; [unrolled: 1-line block ×7, first 2 shown]
	s_cbranch_scc1 .LBB4_28
; %bb.2:
	s_add_u32 s2, s2, s6
	s_addc_u32 s3, s3, s7
	s_load_dwordx4 s[24:27], s[4:5], 0x28
	s_load_dwordx2 s[30:31], s[2:3], 0x0
	s_load_dwordx4 s[8:11], s[4:5], 0x40
	s_load_dwordx2 s[34:35], s[4:5], 0x50
	v_and_b32_e32 v2, 63, v34
	s_waitcnt lgkmcnt(0)
	s_lshl_b64 s[2:3], s[24:25], 4
	s_add_u32 s30, s30, s2
	s_addc_u32 s24, s31, s3
	s_add_u32 s2, s8, s6
	s_addc_u32 s3, s9, s7
	s_load_dwordx2 s[2:3], s[2:3], 0x0
	s_lshl_b64 s[6:7], s[10:11], 4
	v_mov_b32_e32 v3, s24
	v_lshrrev_b32_e32 v44, 4, v2
	v_pk_mov_b32 v[8:9], 0, 0
	s_waitcnt lgkmcnt(0)
	s_add_u32 s2, s2, s6
	s_addc_u32 s3, s3, s7
	s_cmpk_lg_i32 s12, 0x6f
	s_cselect_b64 s[24:25], -1, 0
	s_cmpk_eq_i32 s12, 0x6f
	s_cselect_b32 s6, s26, s27
	v_mul_lo_u32 v0, v35, s6
	v_ashrrev_i32_e32 v1, 31, v0
	v_lshlrev_b64 v[0:1], 4, v[0:1]
	s_cmpk_lg_i32 s13, 0x6f
	v_add_co_u32_e32 v40, vcc, s30, v0
	s_cselect_b64 s[30:31], -1, 0
	s_cmpk_eq_i32 s13, 0x6f
	s_cselect_b32 s6, s35, s34
	v_mul_lo_u32 v0, v36, s6
	v_addc_co_u32_e32 v41, vcc, v3, v1, vcc
	v_ashrrev_i32_e32 v1, 31, v0
	v_lshlrev_b64 v[0:1], 4, v[0:1]
	v_mov_b32_e32 v3, s3
	v_add_co_u32_e32 v42, vcc, s2, v0
	v_addc_co_u32_e32 v43, vcc, v3, v1, vcc
	v_and_b32_e32 v1, 15, v34
	v_mul_lo_u32 v0, v1, s26
	s_cmpk_eq_i32 s12, 0x71
	v_mad_u64_u32 v[24:25], s[36:37], s27, v44, v[0:1]
	v_mul_lo_u32 v0, s26, v33
	s_cselect_b64 s[10:11], -1, 0
	s_cmpk_eq_i32 s13, 0x71
	v_mad_u64_u32 v[26:27], s[36:37], v38, s27, v[0:1]
	v_mul_lo_u32 v0, s34, v33
	v_lshl_or_b32 v3, v1, 2, v44
	s_cselect_b64 s[12:13], -1, 0
	s_lshl_b32 s38, s27, 2
	s_lshl_b32 s39, s26, 2
	v_mad_u64_u32 v[28:29], s[26:27], v38, s35, v[0:1]
	v_mbcnt_hi_u32_b32 v0, -1, v39
	v_mul_lo_u32 v2, v1, s34
	v_and_or_b32 v0, v0, 64, v3
	v_cmp_lt_i32_e64 s[2:3], v38, v32
	v_cmp_lt_i32_e64 s[6:7], v1, v32
	;; [unrolled: 1-line block ×3, first 2 shown]
	s_lshl_b32 s40, s34, 2
	v_mad_u64_u32 v[30:31], s[26:27], s35, v44, v[2:3]
	s_lshl_b32 s41, s35, 2
	s_mov_b32 s42, 0
	v_lshlrev_b32_e32 v45, 2, v0
	v_pk_mov_b32 v[12:13], v[8:9], v[8:9] op_sel:[0,1]
	v_pk_mov_b32 v[16:17], v[8:9], v[8:9] op_sel:[0,1]
	v_pk_mov_b32 v[10:11], v[8:9], v[8:9] op_sel:[0,1]
	v_pk_mov_b32 v[14:15], v[8:9], v[8:9] op_sel:[0,1]
	v_pk_mov_b32 v[18:19], v[8:9], v[8:9] op_sel:[0,1]
	v_pk_mov_b32 v[20:21], v[8:9], v[8:9] op_sel:[0,1]
	v_pk_mov_b32 v[22:23], v[8:9], v[8:9] op_sel:[0,1]
	s_branch .LBB4_6
.LBB4_3:                                ;   in Loop: Header=BB4_6 Depth=1
	s_or_b64 exec, exec, s[34:35]
.LBB4_4:                                ;   in Loop: Header=BB4_6 Depth=1
	s_or_b64 exec, exec, s[26:27]
	s_waitcnt vmcnt(0)
	ds_bpermute_b32 v4, v45, v4
	ds_bpermute_b32 v5, v45, v5
	;; [unrolled: 1-line block ×4, first 2 shown]
.LBB4_5:                                ;   in Loop: Header=BB4_6 Depth=1
	s_waitcnt vmcnt(0) lgkmcnt(0)
	v_xor_b32_e32 v25, 0x80000000, v3
	v_cndmask_b32_e64 v3, v3, v25, s[10:11]
	v_cndmask_b32_e64 v2, v2, v2, s[10:11]
	v_xor_b32_e32 v25, 0x80000000, v7
	v_cndmask_b32_e64 v7, v7, v25, s[12:13]
	v_cndmask_b32_e64 v6, v6, v6, s[12:13]
	v_mfma_f64_16x16x4f64 v[46:53], v[0:1], v[4:5], 0
	s_add_i32 s42, s42, 4
	s_cmp_ge_i32 s42, s33
	v_add_u32_e32 v24, s38, v24
	v_add_u32_e32 v26, s39, v26
	;; [unrolled: 1-line block ×4, first 2 shown]
	v_mfma_f64_16x16x4f64 v[54:61], v[2:3], v[6:7], 0
	s_nop 7
	s_nop 2
	v_add_f64 v[60:61], v[52:53], -v[60:61]
	v_add_f64 v[58:59], v[50:51], -v[58:59]
	;; [unrolled: 1-line block ×4, first 2 shown]
	v_add_f64 v[20:21], v[20:21], v[54:55]
	v_add_f64 v[18:19], v[18:19], v[56:57]
	;; [unrolled: 1-line block ×4, first 2 shown]
	v_mfma_f64_16x16x4f64 v[46:53], v[0:1], v[6:7], 0
	v_mfma_f64_16x16x4f64 v[0:7], v[2:3], v[4:5], 0
	s_nop 7
	s_nop 2
	v_add_f64 v[6:7], v[52:53], v[6:7]
	v_add_f64 v[4:5], v[50:51], v[4:5]
	;; [unrolled: 1-line block ×8, first 2 shown]
	s_cbranch_scc1 .LBB4_28
.LBB4_6:                                ; =>This Inner Loop Header: Depth=1
	s_and_b64 vcc, exec, s[24:25]
	s_cbranch_vccz .LBB4_18
; %bb.7:                                ;   in Loop: Header=BB4_6 Depth=1
	v_pk_mov_b32 v[0:1], 0, 0
	s_mov_b64 s[26:27], 0
	v_pk_mov_b32 v[2:3], v[0:1], v[0:1] op_sel:[0,1]
	s_and_saveexec_b64 s[34:35], s[2:3]
	s_cbranch_execz .LBB4_11
; %bb.8:                                ;   in Loop: Header=BB4_6 Depth=1
	v_add_u32_e32 v0, s42, v33
	v_pk_mov_b32 v[2:3], 0, 0
	v_cmp_gt_i32_e32 vcc, s33, v0
	v_pk_mov_b32 v[0:1], v[2:3], v[2:3] op_sel:[0,1]
	s_and_saveexec_b64 s[36:37], vcc
	s_cbranch_execz .LBB4_10
; %bb.9:                                ;   in Loop: Header=BB4_6 Depth=1
	v_ashrrev_i32_e32 v27, 31, v26
	v_lshlrev_b64 v[0:1], 4, v[26:27]
	v_add_co_u32_e32 v0, vcc, v40, v0
	v_addc_co_u32_e32 v1, vcc, v41, v1, vcc
	global_load_dwordx4 v[0:3], v[0:1], off
.LBB4_10:                               ;   in Loop: Header=BB4_6 Depth=1
	s_or_b64 exec, exec, s[36:37]
.LBB4_11:                               ;   in Loop: Header=BB4_6 Depth=1
	s_or_b64 exec, exec, s[34:35]
	s_waitcnt vmcnt(0)
	ds_bpermute_b32 v0, v45, v0
	ds_bpermute_b32 v1, v45, v1
	;; [unrolled: 1-line block ×4, first 2 shown]
	s_and_b64 vcc, exec, s[26:27]
	s_cbranch_vccnz .LBB4_19
.LBB4_12:                               ;   in Loop: Header=BB4_6 Depth=1
	s_and_b64 vcc, exec, s[30:31]
	s_cbranch_vccz .LBB4_24
.LBB4_13:                               ;   in Loop: Header=BB4_6 Depth=1
	v_pk_mov_b32 v[6:7], 0, 0
	s_mov_b64 s[26:27], 0
	v_pk_mov_b32 v[4:5], v[6:7], v[6:7] op_sel:[0,1]
	s_and_saveexec_b64 s[34:35], s[8:9]
	s_cbranch_execz .LBB4_17
; %bb.14:                               ;   in Loop: Header=BB4_6 Depth=1
	v_add_u32_e32 v4, s42, v44
	v_pk_mov_b32 v[6:7], 0, 0
	v_cmp_gt_i32_e32 vcc, s33, v4
	v_pk_mov_b32 v[4:5], v[6:7], v[6:7] op_sel:[0,1]
	s_and_saveexec_b64 s[36:37], vcc
	s_cbranch_execz .LBB4_16
; %bb.15:                               ;   in Loop: Header=BB4_6 Depth=1
	v_ashrrev_i32_e32 v31, 31, v30
	v_lshlrev_b64 v[4:5], 4, v[30:31]
	v_add_co_u32_e32 v4, vcc, v42, v4
	v_addc_co_u32_e32 v5, vcc, v43, v5, vcc
	global_load_dwordx4 v[4:7], v[4:5], off
.LBB4_16:                               ;   in Loop: Header=BB4_6 Depth=1
	s_or_b64 exec, exec, s[36:37]
.LBB4_17:                               ;   in Loop: Header=BB4_6 Depth=1
	s_or_b64 exec, exec, s[34:35]
	s_andn2_b64 vcc, exec, s[26:27]
	s_cbranch_vccnz .LBB4_5
	s_branch .LBB4_25
.LBB4_18:                               ;   in Loop: Header=BB4_6 Depth=1
                                        ; implicit-def: $vgpr2_vgpr3
	s_cbranch_execz .LBB4_12
.LBB4_19:                               ;   in Loop: Header=BB4_6 Depth=1
	s_waitcnt lgkmcnt(0)
	v_pk_mov_b32 v[2:3], 0, 0
	v_pk_mov_b32 v[0:1], v[2:3], v[2:3] op_sel:[0,1]
	s_and_saveexec_b64 s[26:27], s[6:7]
	s_cbranch_execz .LBB4_23
; %bb.20:                               ;   in Loop: Header=BB4_6 Depth=1
	v_add_u32_e32 v0, s42, v44
	v_pk_mov_b32 v[2:3], 0, 0
	v_cmp_gt_i32_e32 vcc, s33, v0
	v_pk_mov_b32 v[0:1], v[2:3], v[2:3] op_sel:[0,1]
	s_and_saveexec_b64 s[34:35], vcc
	s_cbranch_execz .LBB4_22
; %bb.21:                               ;   in Loop: Header=BB4_6 Depth=1
	v_ashrrev_i32_e32 v25, 31, v24
	v_lshlrev_b64 v[0:1], 4, v[24:25]
	v_add_co_u32_e32 v0, vcc, v40, v0
	v_addc_co_u32_e32 v1, vcc, v41, v1, vcc
	global_load_dwordx4 v[0:3], v[0:1], off
.LBB4_22:                               ;   in Loop: Header=BB4_6 Depth=1
	s_or_b64 exec, exec, s[34:35]
.LBB4_23:                               ;   in Loop: Header=BB4_6 Depth=1
	s_or_b64 exec, exec, s[26:27]
	s_and_b64 vcc, exec, s[30:31]
	s_cbranch_vccnz .LBB4_13
.LBB4_24:                               ;   in Loop: Header=BB4_6 Depth=1
                                        ; implicit-def: $vgpr6_vgpr7
.LBB4_25:                               ;   in Loop: Header=BB4_6 Depth=1
	s_waitcnt vmcnt(0)
	v_pk_mov_b32 v[4:5], 0, 0
	v_pk_mov_b32 v[6:7], v[4:5], v[4:5] op_sel:[0,1]
	s_and_saveexec_b64 s[26:27], s[0:1]
	s_cbranch_execz .LBB4_4
; %bb.26:                               ;   in Loop: Header=BB4_6 Depth=1
	v_add_u32_e32 v4, s42, v33
	v_pk_mov_b32 v[6:7], 0, 0
	v_cmp_gt_i32_e32 vcc, s33, v4
	v_pk_mov_b32 v[4:5], v[6:7], v[6:7] op_sel:[0,1]
	s_and_saveexec_b64 s[34:35], vcc
	s_cbranch_execz .LBB4_3
; %bb.27:                               ;   in Loop: Header=BB4_6 Depth=1
	v_ashrrev_i32_e32 v29, 31, v28
	v_lshlrev_b64 v[4:5], 4, v[28:29]
	v_add_co_u32_e32 v4, vcc, v42, v4
	v_addc_co_u32_e32 v5, vcc, v43, v5, vcc
	global_load_dwordx4 v[4:7], v[4:5], off
	s_branch .LBB4_3
.LBB4_28:
	s_load_dwordx2 s[2:3], s[4:5], 0x78
	s_lshl_b64 s[0:1], s[28:29], 4
	s_waitcnt lgkmcnt(0)
	s_add_u32 s4, s14, s0
	s_addc_u32 s5, s15, s1
	v_mul_lo_u32 v0, v35, s2
	v_mad_u64_u32 v[0:1], s[0:1], v36, s3, v[0:1]
	v_ashrrev_i32_e32 v1, 31, v0
	v_lshlrev_b64 v[2:3], 4, v[0:1]
	v_mov_b32_e32 v0, s5
	v_add_co_u32_e32 v1, vcc, s4, v2
	v_addc_co_u32_e32 v6, vcc, v0, v3, vcc
	v_lshlrev_b32_e32 v0, 4, v34
	v_mbcnt_hi_u32_b32 v2, -1, v39
	v_and_b32_e32 v0, 48, v0
	v_and_b32_e32 v2, 64, v2
	v_or3_b32 v0, v0, v2, v38
	v_lshlrev_b32_e32 v7, 2, v0
	ds_bpermute_b32 v2, v7, v20
	ds_bpermute_b32 v3, v7, v21
	;; [unrolled: 1-line block ×4, first 2 shown]
	v_cmp_lt_i32_e32 vcc, v38, v37
	v_cmp_lt_i32_e64 s[0:1], v33, v32
	v_mul_lo_u32 v0, v38, s3
	s_and_b64 s[0:1], vcc, s[0:1]
	s_and_saveexec_b64 s[4:5], s[0:1]
	s_cbranch_execz .LBB4_30
; %bb.29:
	v_mad_u64_u32 v[20:21], s[0:1], v33, s2, v[0:1]
	v_ashrrev_i32_e32 v21, 31, v20
	v_lshlrev_b64 v[20:21], 4, v[20:21]
	v_add_co_u32_e64 v24, s[0:1], v1, v20
	v_addc_co_u32_e64 v25, s[0:1], v6, v21, s[0:1]
	global_load_dwordx4 v[20:23], v[24:25], off
	s_waitcnt lgkmcnt(0)
	v_mul_f64 v[26:27], s[22:23], v[4:5]
	v_mul_f64 v[4:5], s[20:21], v[4:5]
	v_fma_f64 v[26:27], s[20:21], v[2:3], -v[26:27]
	v_fmac_f64_e32 v[4:5], s[22:23], v[2:3]
	s_waitcnt vmcnt(0)
	v_mul_f64 v[2:3], s[18:19], v[22:23]
	v_mul_f64 v[22:23], s[16:17], v[22:23]
	v_fma_f64 v[2:3], s[16:17], v[20:21], -v[2:3]
	v_fmac_f64_e32 v[22:23], s[18:19], v[20:21]
	v_add_f64 v[2:3], v[26:27], v[2:3]
	v_add_f64 v[4:5], v[4:5], v[22:23]
	global_store_dwordx4 v[24:25], v[2:5], off
.LBB4_30:
	s_or_b64 exec, exec, s[4:5]
	s_waitcnt lgkmcnt(3)
	ds_bpermute_b32 v2, v7, v18
	s_waitcnt lgkmcnt(3)
	ds_bpermute_b32 v3, v7, v19
	s_waitcnt lgkmcnt(3)
	ds_bpermute_b32 v4, v7, v16
	s_waitcnt lgkmcnt(3)
	ds_bpermute_b32 v5, v7, v17
	v_or_b32_e32 v16, 4, v33
	v_cmp_lt_i32_e64 s[0:1], v16, v32
	s_and_b64 s[0:1], vcc, s[0:1]
	s_and_saveexec_b64 s[4:5], s[0:1]
	s_cbranch_execz .LBB4_32
; %bb.31:
	v_mad_u64_u32 v[16:17], s[0:1], v16, s2, v[0:1]
	v_ashrrev_i32_e32 v17, 31, v16
	v_lshlrev_b64 v[16:17], 4, v[16:17]
	v_add_co_u32_e64 v20, s[0:1], v1, v16
	v_addc_co_u32_e64 v21, s[0:1], v6, v17, s[0:1]
	global_load_dwordx4 v[16:19], v[20:21], off
	s_waitcnt lgkmcnt(0)
	v_mul_f64 v[22:23], s[22:23], v[4:5]
	v_mul_f64 v[4:5], s[20:21], v[4:5]
	v_fma_f64 v[22:23], s[20:21], v[2:3], -v[22:23]
	v_fmac_f64_e32 v[4:5], s[22:23], v[2:3]
	s_waitcnt vmcnt(0)
	v_mul_f64 v[2:3], s[18:19], v[18:19]
	v_mul_f64 v[18:19], s[16:17], v[18:19]
	v_fma_f64 v[2:3], s[16:17], v[16:17], -v[2:3]
	v_fmac_f64_e32 v[18:19], s[18:19], v[16:17]
	v_add_f64 v[2:3], v[22:23], v[2:3]
	v_add_f64 v[4:5], v[4:5], v[18:19]
	global_store_dwordx4 v[20:21], v[2:5], off
.LBB4_32:
	s_or_b64 exec, exec, s[4:5]
	s_waitcnt lgkmcnt(3)
	ds_bpermute_b32 v2, v7, v14
	s_waitcnt lgkmcnt(3)
	ds_bpermute_b32 v3, v7, v15
	s_waitcnt lgkmcnt(3)
	ds_bpermute_b32 v4, v7, v12
	s_waitcnt lgkmcnt(3)
	ds_bpermute_b32 v5, v7, v13
	v_or_b32_e32 v12, 8, v33
	v_cmp_lt_i32_e64 s[0:1], v12, v32
	;; [unrolled: 35-line block ×3, first 2 shown]
	s_and_b64 s[0:1], vcc, s[0:1]
	s_and_b64 exec, exec, s[0:1]
	s_cbranch_execz .LBB4_36
; %bb.35:
	v_mad_u64_u32 v[8:9], s[0:1], v7, s2, v[0:1]
	v_ashrrev_i32_e32 v9, 31, v8
	v_lshlrev_b64 v[8:9], 4, v[8:9]
	v_add_co_u32_e32 v10, vcc, v1, v8
	v_addc_co_u32_e32 v11, vcc, v6, v9, vcc
	global_load_dwordx4 v[6:9], v[10:11], off
	s_waitcnt lgkmcnt(0)
	v_mul_f64 v[0:1], s[22:23], v[4:5]
	v_mul_f64 v[4:5], s[20:21], v[4:5]
	v_fma_f64 v[0:1], s[20:21], v[2:3], -v[0:1]
	v_fmac_f64_e32 v[4:5], s[22:23], v[2:3]
	s_waitcnt vmcnt(0)
	v_mul_f64 v[2:3], s[18:19], v[8:9]
	v_mul_f64 v[8:9], s[16:17], v[8:9]
	v_fma_f64 v[2:3], s[16:17], v[6:7], -v[2:3]
	v_fmac_f64_e32 v[8:9], s[18:19], v[6:7]
	v_add_f64 v[0:1], v[0:1], v[2:3]
	v_add_f64 v[2:3], v[4:5], v[8:9]
	global_store_dwordx4 v[10:11], v[0:3], off
.LBB4_36:
	s_endpgm
	.section	.rodata,"a",@progbits
	.p2align	6, 0x0
	.amdhsa_kernel _ZN9rocsolver6v33100L16mfma_gemm_kernelI19rocblas_complex_numIdEiPKS3_PKPS3_S8_S8_EEv18rocblas_operation_S9_T0_SA_SA_T1_T2_lSA_SA_lT3_lSA_SA_lSB_T4_lSA_SA_l
		.amdhsa_group_segment_fixed_size 0
		.amdhsa_private_segment_fixed_size 0
		.amdhsa_kernarg_size 392
		.amdhsa_user_sgpr_count 6
		.amdhsa_user_sgpr_private_segment_buffer 1
		.amdhsa_user_sgpr_dispatch_ptr 0
		.amdhsa_user_sgpr_queue_ptr 0
		.amdhsa_user_sgpr_kernarg_segment_ptr 1
		.amdhsa_user_sgpr_dispatch_id 0
		.amdhsa_user_sgpr_flat_scratch_init 0
		.amdhsa_user_sgpr_kernarg_preload_length 0
		.amdhsa_user_sgpr_kernarg_preload_offset 0
		.amdhsa_user_sgpr_private_segment_size 0
		.amdhsa_uses_dynamic_stack 0
		.amdhsa_system_sgpr_private_segment_wavefront_offset 0
		.amdhsa_system_sgpr_workgroup_id_x 1
		.amdhsa_system_sgpr_workgroup_id_y 1
		.amdhsa_system_sgpr_workgroup_id_z 1
		.amdhsa_system_sgpr_workgroup_info 0
		.amdhsa_system_vgpr_workitem_id 1
		.amdhsa_next_free_vgpr 62
		.amdhsa_next_free_sgpr 43
		.amdhsa_accum_offset 64
		.amdhsa_reserve_vcc 1
		.amdhsa_reserve_flat_scratch 0
		.amdhsa_float_round_mode_32 0
		.amdhsa_float_round_mode_16_64 0
		.amdhsa_float_denorm_mode_32 3
		.amdhsa_float_denorm_mode_16_64 3
		.amdhsa_dx10_clamp 1
		.amdhsa_ieee_mode 1
		.amdhsa_fp16_overflow 0
		.amdhsa_tg_split 0
		.amdhsa_exception_fp_ieee_invalid_op 0
		.amdhsa_exception_fp_denorm_src 0
		.amdhsa_exception_fp_ieee_div_zero 0
		.amdhsa_exception_fp_ieee_overflow 0
		.amdhsa_exception_fp_ieee_underflow 0
		.amdhsa_exception_fp_ieee_inexact 0
		.amdhsa_exception_int_div_zero 0
	.end_amdhsa_kernel
	.section	.text._ZN9rocsolver6v33100L16mfma_gemm_kernelI19rocblas_complex_numIdEiPKS3_PKPS3_S8_S8_EEv18rocblas_operation_S9_T0_SA_SA_T1_T2_lSA_SA_lT3_lSA_SA_lSB_T4_lSA_SA_l,"axG",@progbits,_ZN9rocsolver6v33100L16mfma_gemm_kernelI19rocblas_complex_numIdEiPKS3_PKPS3_S8_S8_EEv18rocblas_operation_S9_T0_SA_SA_T1_T2_lSA_SA_lT3_lSA_SA_lSB_T4_lSA_SA_l,comdat
.Lfunc_end4:
	.size	_ZN9rocsolver6v33100L16mfma_gemm_kernelI19rocblas_complex_numIdEiPKS3_PKPS3_S8_S8_EEv18rocblas_operation_S9_T0_SA_SA_T1_T2_lSA_SA_lT3_lSA_SA_lSB_T4_lSA_SA_l, .Lfunc_end4-_ZN9rocsolver6v33100L16mfma_gemm_kernelI19rocblas_complex_numIdEiPKS3_PKPS3_S8_S8_EEv18rocblas_operation_S9_T0_SA_SA_T1_T2_lSA_SA_lT3_lSA_SA_lSB_T4_lSA_SA_l
                                        ; -- End function
	.section	.AMDGPU.csdata,"",@progbits
; Kernel info:
; codeLenInByte = 2440
; NumSgprs: 47
; NumVgprs: 62
; NumAgprs: 0
; TotalNumVgprs: 62
; ScratchSize: 0
; MemoryBound: 1
; FloatMode: 240
; IeeeMode: 1
; LDSByteSize: 0 bytes/workgroup (compile time only)
; SGPRBlocks: 5
; VGPRBlocks: 7
; NumSGPRsForWavesPerEU: 47
; NumVGPRsForWavesPerEU: 62
; AccumOffset: 64
; Occupancy: 8
; WaveLimiterHint : 1
; COMPUTE_PGM_RSRC2:SCRATCH_EN: 0
; COMPUTE_PGM_RSRC2:USER_SGPR: 6
; COMPUTE_PGM_RSRC2:TRAP_HANDLER: 0
; COMPUTE_PGM_RSRC2:TGID_X_EN: 1
; COMPUTE_PGM_RSRC2:TGID_Y_EN: 1
; COMPUTE_PGM_RSRC2:TGID_Z_EN: 1
; COMPUTE_PGM_RSRC2:TIDIG_COMP_CNT: 1
; COMPUTE_PGM_RSRC3_GFX90A:ACCUM_OFFSET: 15
; COMPUTE_PGM_RSRC3_GFX90A:TG_SPLIT: 0
	.section	.text._ZN9rocsolver6v33100L16mfma_gemm_kernelI19rocblas_complex_numIdEiS3_PKPS3_S6_S6_EEv18rocblas_operation_S7_T0_S8_S8_T1_T2_lS8_S8_lT3_lS8_S8_lS9_T4_lS8_S8_l,"axG",@progbits,_ZN9rocsolver6v33100L16mfma_gemm_kernelI19rocblas_complex_numIdEiS3_PKPS3_S6_S6_EEv18rocblas_operation_S7_T0_S8_S8_T1_T2_lS8_S8_lT3_lS8_S8_lS9_T4_lS8_S8_l,comdat
	.globl	_ZN9rocsolver6v33100L16mfma_gemm_kernelI19rocblas_complex_numIdEiS3_PKPS3_S6_S6_EEv18rocblas_operation_S7_T0_S8_S8_T1_T2_lS8_S8_lT3_lS8_S8_lS9_T4_lS8_S8_l ; -- Begin function _ZN9rocsolver6v33100L16mfma_gemm_kernelI19rocblas_complex_numIdEiS3_PKPS3_S6_S6_EEv18rocblas_operation_S7_T0_S8_S8_T1_T2_lS8_S8_lT3_lS8_S8_lS9_T4_lS8_S8_l
	.p2align	8
	.type	_ZN9rocsolver6v33100L16mfma_gemm_kernelI19rocblas_complex_numIdEiS3_PKPS3_S6_S6_EEv18rocblas_operation_S7_T0_S8_S8_T1_T2_lS8_S8_lT3_lS8_S8_lS9_T4_lS8_S8_l,@function
_ZN9rocsolver6v33100L16mfma_gemm_kernelI19rocblas_complex_numIdEiS3_PKPS3_S6_S6_EEv18rocblas_operation_S7_T0_S8_S8_T1_T2_lS8_S8_lT3_lS8_S8_lS9_T4_lS8_S8_l: ; @_ZN9rocsolver6v33100L16mfma_gemm_kernelI19rocblas_complex_numIdEiS3_PKPS3_S6_S6_EEv18rocblas_operation_S7_T0_S8_S8_T1_T2_lS8_S8_lT3_lS8_S8_lS9_T4_lS8_S8_l
; %bb.0:
	s_load_dword s0, s[4:5], 0xa4
	s_load_dwordx4 s[12:15], s[4:5], 0x0
	v_and_b32_e32 v34, 0x3ff, v0
	v_bfe_u32 v0, v0, 10, 10
	v_lshrrev_b32_e32 v1, 6, v34
	s_waitcnt lgkmcnt(0)
	s_lshr_b32 s1, s0, 16
	s_bfe_u32 s0, s0, 0xa0006
	s_mul_i32 s7, s7, s1
	s_mul_i32 s6, s6, s0
	v_add_u32_e32 v0, s7, v0
	v_add_lshl_u32 v36, s6, v1, 4
	v_lshlrev_b32_e32 v37, 4, v0
	v_cmp_gt_i32_e32 vcc, s14, v36
	v_cmp_gt_i32_e64 s[0:1], s15, v37
	s_and_b64 s[0:1], vcc, s[0:1]
	s_and_saveexec_b64 s[2:3], s[0:1]
	s_cbranch_execz .LBB5_36
; %bb.1:
	s_ashr_i32 s0, s14, 31
	s_lshr_b32 s0, s0, 28
	s_add_i32 s0, s14, s0
	s_and_b32 s0, s0, -16
	s_sub_i32 s0, s14, s0
	s_load_dword s33, s[4:5], 0x10
	s_load_dwordx8 s[24:31], s[4:5], 0x18
	s_load_dwordx8 s[16:23], s[4:5], 0x68
	v_mov_b32_e32 v1, s0
	s_ashr_i32 s0, s15, 31
	s_lshr_b32 s0, s0, 28
	s_add_i32 s0, s15, s0
	v_add_u32_e32 v0, 16, v36
	s_and_b32 s0, s0, -16
	s_ashr_i32 s9, s8, 31
	v_cmp_lt_i32_e32 vcc, s14, v0
	s_sub_i32 s0, s15, s0
	s_lshl_b64 s[2:3], s[8:9], 3
	v_cndmask_b32_e32 v32, 16, v1, vcc
	v_mov_b32_e32 v1, s0
	s_waitcnt lgkmcnt(0)
	s_add_u32 s0, s20, s2
	v_add_u32_e32 v0, 16, v37
	s_addc_u32 s1, s21, s3
	v_cmp_lt_i32_e32 vcc, s15, v0
	s_load_dwordx2 s[14:15], s[0:1], 0x0
	v_cndmask_b32_e32 v35, 16, v1, vcc
	v_bfe_u32 v38, v34, 2, 4
	v_pk_mov_b32 v[20:21], 0, 0
	v_and_b32_e32 v33, 3, v34
	s_cmp_lt_i32 s33, 1
	v_cmp_lt_i32_e64 s[0:1], v38, v35
	v_mbcnt_lo_u32_b32 v39, -1, 0
	v_pk_mov_b32 v[22:23], v[20:21], v[20:21] op_sel:[0,1]
	v_pk_mov_b32 v[8:9], v[20:21], v[20:21] op_sel:[0,1]
	;; [unrolled: 1-line block ×7, first 2 shown]
	s_cbranch_scc1 .LBB5_28
; %bb.2:
	s_add_u32 s6, s28, s2
	s_addc_u32 s7, s29, s3
	s_load_dwordx2 s[20:21], s[6:7], 0x0
	s_load_dwordx4 s[8:11], s[4:5], 0x48
	s_load_dwordx2 s[34:35], s[4:5], 0x38
	s_lshl_b64 s[6:7], s[30:31], 4
	s_load_dwordx2 s[30:31], s[4:5], 0x58
	s_waitcnt lgkmcnt(0)
	s_add_u32 s28, s20, s6
	s_addc_u32 s6, s21, s7
	s_add_u32 s2, s8, s2
	s_addc_u32 s3, s9, s3
	s_load_dwordx2 s[2:3], s[2:3], 0x0
	v_mov_b32_e32 v3, s6
	s_lshl_b64 s[6:7], s[10:11], 4
	v_and_b32_e32 v2, 63, v34
	v_lshrrev_b32_e32 v44, 4, v2
	s_waitcnt lgkmcnt(0)
	s_add_u32 s2, s2, s6
	s_addc_u32 s3, s3, s7
	s_cmpk_lg_i32 s12, 0x6f
	s_cselect_b64 s[20:21], -1, 0
	s_cmpk_eq_i32 s12, 0x6f
	s_cselect_b32 s6, s34, s35
	v_mul_lo_u32 v0, v36, s6
	v_ashrrev_i32_e32 v1, 31, v0
	v_lshlrev_b64 v[0:1], 4, v[0:1]
	s_cmpk_lg_i32 s13, 0x6f
	v_add_co_u32_e32 v40, vcc, s28, v0
	s_cselect_b64 s[28:29], -1, 0
	s_cmpk_eq_i32 s13, 0x6f
	s_cselect_b32 s6, s31, s30
	v_mul_lo_u32 v0, v37, s6
	v_addc_co_u32_e32 v41, vcc, v3, v1, vcc
	v_ashrrev_i32_e32 v1, 31, v0
	v_lshlrev_b64 v[0:1], 4, v[0:1]
	v_mov_b32_e32 v3, s3
	v_add_co_u32_e32 v42, vcc, s2, v0
	v_addc_co_u32_e32 v43, vcc, v3, v1, vcc
	v_and_b32_e32 v1, 15, v34
	v_mul_lo_u32 v0, v1, s34
	s_cmpk_eq_i32 s12, 0x71
	v_mad_u64_u32 v[24:25], s[36:37], s35, v44, v[0:1]
	v_mul_lo_u32 v0, s34, v33
	s_cselect_b64 s[10:11], -1, 0
	s_cmpk_eq_i32 s13, 0x71
	v_mad_u64_u32 v[26:27], s[36:37], v38, s35, v[0:1]
	v_mul_lo_u32 v0, s30, v33
	v_lshl_or_b32 v3, v1, 2, v44
	s_cselect_b64 s[12:13], -1, 0
	s_lshl_b32 s38, s35, 2
	s_lshl_b32 s39, s34, 2
	v_mad_u64_u32 v[28:29], s[34:35], v38, s31, v[0:1]
	v_mbcnt_hi_u32_b32 v0, -1, v39
	v_mul_lo_u32 v2, v1, s30
	v_pk_mov_b32 v[8:9], 0, 0
	v_and_or_b32 v0, v0, 64, v3
	v_cmp_lt_i32_e64 s[2:3], v38, v32
	v_cmp_lt_i32_e64 s[6:7], v1, v32
	;; [unrolled: 1-line block ×3, first 2 shown]
	s_lshl_b32 s40, s30, 2
	v_mad_u64_u32 v[30:31], s[34:35], s31, v44, v[2:3]
	s_lshl_b32 s41, s31, 2
	s_mov_b32 s42, 0
	v_lshlrev_b32_e32 v45, 2, v0
	v_pk_mov_b32 v[12:13], v[8:9], v[8:9] op_sel:[0,1]
	v_pk_mov_b32 v[16:17], v[8:9], v[8:9] op_sel:[0,1]
	;; [unrolled: 1-line block ×7, first 2 shown]
	s_branch .LBB5_6
.LBB5_3:                                ;   in Loop: Header=BB5_6 Depth=1
	s_or_b64 exec, exec, s[34:35]
.LBB5_4:                                ;   in Loop: Header=BB5_6 Depth=1
	s_or_b64 exec, exec, s[30:31]
	s_waitcnt vmcnt(0)
	ds_bpermute_b32 v4, v45, v4
	ds_bpermute_b32 v5, v45, v5
	;; [unrolled: 1-line block ×4, first 2 shown]
.LBB5_5:                                ;   in Loop: Header=BB5_6 Depth=1
	s_waitcnt vmcnt(0) lgkmcnt(0)
	v_xor_b32_e32 v25, 0x80000000, v3
	v_cndmask_b32_e64 v3, v3, v25, s[10:11]
	v_cndmask_b32_e64 v2, v2, v2, s[10:11]
	v_xor_b32_e32 v25, 0x80000000, v7
	v_cndmask_b32_e64 v7, v7, v25, s[12:13]
	v_cndmask_b32_e64 v6, v6, v6, s[12:13]
	v_mfma_f64_16x16x4f64 v[46:53], v[0:1], v[4:5], 0
	s_add_i32 s42, s42, 4
	s_cmp_ge_i32 s42, s33
	v_add_u32_e32 v24, s38, v24
	v_add_u32_e32 v26, s39, v26
	;; [unrolled: 1-line block ×4, first 2 shown]
	v_mfma_f64_16x16x4f64 v[54:61], v[2:3], v[6:7], 0
	s_nop 7
	s_nop 2
	v_add_f64 v[60:61], v[52:53], -v[60:61]
	v_add_f64 v[58:59], v[50:51], -v[58:59]
	;; [unrolled: 1-line block ×4, first 2 shown]
	v_add_f64 v[20:21], v[20:21], v[54:55]
	v_add_f64 v[18:19], v[18:19], v[56:57]
	;; [unrolled: 1-line block ×4, first 2 shown]
	v_mfma_f64_16x16x4f64 v[46:53], v[0:1], v[6:7], 0
	v_mfma_f64_16x16x4f64 v[0:7], v[2:3], v[4:5], 0
	s_nop 7
	s_nop 2
	v_add_f64 v[6:7], v[52:53], v[6:7]
	v_add_f64 v[4:5], v[50:51], v[4:5]
	;; [unrolled: 1-line block ×8, first 2 shown]
	s_cbranch_scc1 .LBB5_28
.LBB5_6:                                ; =>This Inner Loop Header: Depth=1
	s_and_b64 vcc, exec, s[20:21]
	s_cbranch_vccz .LBB5_18
; %bb.7:                                ;   in Loop: Header=BB5_6 Depth=1
	v_pk_mov_b32 v[0:1], 0, 0
	s_mov_b64 s[30:31], 0
	v_pk_mov_b32 v[2:3], v[0:1], v[0:1] op_sel:[0,1]
	s_and_saveexec_b64 s[34:35], s[2:3]
	s_cbranch_execz .LBB5_11
; %bb.8:                                ;   in Loop: Header=BB5_6 Depth=1
	v_add_u32_e32 v0, s42, v33
	v_pk_mov_b32 v[2:3], 0, 0
	v_cmp_gt_i32_e32 vcc, s33, v0
	v_pk_mov_b32 v[0:1], v[2:3], v[2:3] op_sel:[0,1]
	s_and_saveexec_b64 s[36:37], vcc
	s_cbranch_execz .LBB5_10
; %bb.9:                                ;   in Loop: Header=BB5_6 Depth=1
	v_ashrrev_i32_e32 v27, 31, v26
	v_lshlrev_b64 v[0:1], 4, v[26:27]
	v_add_co_u32_e32 v0, vcc, v40, v0
	v_addc_co_u32_e32 v1, vcc, v41, v1, vcc
	global_load_dwordx4 v[0:3], v[0:1], off
.LBB5_10:                               ;   in Loop: Header=BB5_6 Depth=1
	s_or_b64 exec, exec, s[36:37]
.LBB5_11:                               ;   in Loop: Header=BB5_6 Depth=1
	s_or_b64 exec, exec, s[34:35]
	s_waitcnt vmcnt(0)
	ds_bpermute_b32 v0, v45, v0
	ds_bpermute_b32 v1, v45, v1
	;; [unrolled: 1-line block ×4, first 2 shown]
	s_and_b64 vcc, exec, s[30:31]
	s_cbranch_vccnz .LBB5_19
.LBB5_12:                               ;   in Loop: Header=BB5_6 Depth=1
	s_and_b64 vcc, exec, s[28:29]
	s_cbranch_vccz .LBB5_24
.LBB5_13:                               ;   in Loop: Header=BB5_6 Depth=1
	v_pk_mov_b32 v[6:7], 0, 0
	s_mov_b64 s[30:31], 0
	v_pk_mov_b32 v[4:5], v[6:7], v[6:7] op_sel:[0,1]
	s_and_saveexec_b64 s[34:35], s[8:9]
	s_cbranch_execz .LBB5_17
; %bb.14:                               ;   in Loop: Header=BB5_6 Depth=1
	v_add_u32_e32 v4, s42, v44
	v_pk_mov_b32 v[6:7], 0, 0
	v_cmp_gt_i32_e32 vcc, s33, v4
	v_pk_mov_b32 v[4:5], v[6:7], v[6:7] op_sel:[0,1]
	s_and_saveexec_b64 s[36:37], vcc
	s_cbranch_execz .LBB5_16
; %bb.15:                               ;   in Loop: Header=BB5_6 Depth=1
	v_ashrrev_i32_e32 v31, 31, v30
	v_lshlrev_b64 v[4:5], 4, v[30:31]
	v_add_co_u32_e32 v4, vcc, v42, v4
	v_addc_co_u32_e32 v5, vcc, v43, v5, vcc
	global_load_dwordx4 v[4:7], v[4:5], off
.LBB5_16:                               ;   in Loop: Header=BB5_6 Depth=1
	s_or_b64 exec, exec, s[36:37]
.LBB5_17:                               ;   in Loop: Header=BB5_6 Depth=1
	s_or_b64 exec, exec, s[34:35]
	s_andn2_b64 vcc, exec, s[30:31]
	s_cbranch_vccnz .LBB5_5
	s_branch .LBB5_25
.LBB5_18:                               ;   in Loop: Header=BB5_6 Depth=1
                                        ; implicit-def: $vgpr2_vgpr3
	s_cbranch_execz .LBB5_12
.LBB5_19:                               ;   in Loop: Header=BB5_6 Depth=1
	s_waitcnt lgkmcnt(0)
	v_pk_mov_b32 v[2:3], 0, 0
	v_pk_mov_b32 v[0:1], v[2:3], v[2:3] op_sel:[0,1]
	s_and_saveexec_b64 s[30:31], s[6:7]
	s_cbranch_execz .LBB5_23
; %bb.20:                               ;   in Loop: Header=BB5_6 Depth=1
	v_add_u32_e32 v0, s42, v44
	v_pk_mov_b32 v[2:3], 0, 0
	v_cmp_gt_i32_e32 vcc, s33, v0
	v_pk_mov_b32 v[0:1], v[2:3], v[2:3] op_sel:[0,1]
	s_and_saveexec_b64 s[34:35], vcc
	s_cbranch_execz .LBB5_22
; %bb.21:                               ;   in Loop: Header=BB5_6 Depth=1
	v_ashrrev_i32_e32 v25, 31, v24
	v_lshlrev_b64 v[0:1], 4, v[24:25]
	v_add_co_u32_e32 v0, vcc, v40, v0
	v_addc_co_u32_e32 v1, vcc, v41, v1, vcc
	global_load_dwordx4 v[0:3], v[0:1], off
.LBB5_22:                               ;   in Loop: Header=BB5_6 Depth=1
	s_or_b64 exec, exec, s[34:35]
.LBB5_23:                               ;   in Loop: Header=BB5_6 Depth=1
	s_or_b64 exec, exec, s[30:31]
	s_and_b64 vcc, exec, s[28:29]
	s_cbranch_vccnz .LBB5_13
.LBB5_24:                               ;   in Loop: Header=BB5_6 Depth=1
                                        ; implicit-def: $vgpr6_vgpr7
.LBB5_25:                               ;   in Loop: Header=BB5_6 Depth=1
	s_waitcnt vmcnt(0)
	v_pk_mov_b32 v[4:5], 0, 0
	v_pk_mov_b32 v[6:7], v[4:5], v[4:5] op_sel:[0,1]
	s_and_saveexec_b64 s[30:31], s[0:1]
	s_cbranch_execz .LBB5_4
; %bb.26:                               ;   in Loop: Header=BB5_6 Depth=1
	v_add_u32_e32 v4, s42, v33
	v_pk_mov_b32 v[6:7], 0, 0
	v_cmp_gt_i32_e32 vcc, s33, v4
	v_pk_mov_b32 v[4:5], v[6:7], v[6:7] op_sel:[0,1]
	s_and_saveexec_b64 s[34:35], vcc
	s_cbranch_execz .LBB5_3
; %bb.27:                               ;   in Loop: Header=BB5_6 Depth=1
	v_ashrrev_i32_e32 v29, 31, v28
	v_lshlrev_b64 v[4:5], 4, v[28:29]
	v_add_co_u32_e32 v4, vcc, v42, v4
	v_addc_co_u32_e32 v5, vcc, v43, v5, vcc
	global_load_dwordx4 v[4:7], v[4:5], off
	s_branch .LBB5_3
.LBB5_28:
	s_load_dwordx2 s[2:3], s[4:5], 0x88
	s_lshl_b64 s[0:1], s[22:23], 4
	s_waitcnt lgkmcnt(0)
	s_add_u32 s4, s14, s0
	s_addc_u32 s5, s15, s1
	v_mul_lo_u32 v0, v36, s2
	v_mad_u64_u32 v[0:1], s[0:1], v37, s3, v[0:1]
	v_ashrrev_i32_e32 v1, 31, v0
	v_lshlrev_b64 v[2:3], 4, v[0:1]
	v_mov_b32_e32 v0, s5
	v_add_co_u32_e32 v1, vcc, s4, v2
	v_addc_co_u32_e32 v6, vcc, v0, v3, vcc
	v_lshlrev_b32_e32 v0, 4, v34
	v_mbcnt_hi_u32_b32 v2, -1, v39
	v_and_b32_e32 v0, 48, v0
	v_and_b32_e32 v2, 64, v2
	v_or3_b32 v0, v0, v2, v38
	v_lshlrev_b32_e32 v7, 2, v0
	ds_bpermute_b32 v2, v7, v20
	ds_bpermute_b32 v3, v7, v21
	;; [unrolled: 1-line block ×4, first 2 shown]
	v_cmp_lt_i32_e32 vcc, v38, v35
	v_cmp_lt_i32_e64 s[0:1], v33, v32
	v_mul_lo_u32 v0, v38, s3
	s_and_b64 s[0:1], vcc, s[0:1]
	s_and_saveexec_b64 s[4:5], s[0:1]
	s_cbranch_execz .LBB5_30
; %bb.29:
	v_mad_u64_u32 v[20:21], s[0:1], v33, s2, v[0:1]
	v_ashrrev_i32_e32 v21, 31, v20
	v_lshlrev_b64 v[20:21], 4, v[20:21]
	v_add_co_u32_e64 v24, s[0:1], v1, v20
	v_addc_co_u32_e64 v25, s[0:1], v6, v21, s[0:1]
	global_load_dwordx4 v[20:23], v[24:25], off
	s_waitcnt lgkmcnt(0)
	v_mul_f64 v[26:27], s[26:27], v[4:5]
	v_mul_f64 v[4:5], s[24:25], v[4:5]
	v_fma_f64 v[26:27], s[24:25], v[2:3], -v[26:27]
	v_fmac_f64_e32 v[4:5], s[26:27], v[2:3]
	s_waitcnt vmcnt(0)
	v_mul_f64 v[2:3], s[18:19], v[22:23]
	v_mul_f64 v[22:23], s[16:17], v[22:23]
	v_fma_f64 v[2:3], s[16:17], v[20:21], -v[2:3]
	v_fmac_f64_e32 v[22:23], s[18:19], v[20:21]
	v_add_f64 v[2:3], v[26:27], v[2:3]
	v_add_f64 v[4:5], v[4:5], v[22:23]
	global_store_dwordx4 v[24:25], v[2:5], off
.LBB5_30:
	s_or_b64 exec, exec, s[4:5]
	s_waitcnt lgkmcnt(3)
	ds_bpermute_b32 v2, v7, v18
	s_waitcnt lgkmcnt(3)
	ds_bpermute_b32 v3, v7, v19
	s_waitcnt lgkmcnt(3)
	ds_bpermute_b32 v4, v7, v16
	s_waitcnt lgkmcnt(3)
	ds_bpermute_b32 v5, v7, v17
	v_or_b32_e32 v16, 4, v33
	v_cmp_lt_i32_e64 s[0:1], v16, v32
	s_and_b64 s[0:1], vcc, s[0:1]
	s_and_saveexec_b64 s[4:5], s[0:1]
	s_cbranch_execz .LBB5_32
; %bb.31:
	v_mad_u64_u32 v[16:17], s[0:1], v16, s2, v[0:1]
	v_ashrrev_i32_e32 v17, 31, v16
	v_lshlrev_b64 v[16:17], 4, v[16:17]
	v_add_co_u32_e64 v20, s[0:1], v1, v16
	v_addc_co_u32_e64 v21, s[0:1], v6, v17, s[0:1]
	global_load_dwordx4 v[16:19], v[20:21], off
	s_waitcnt lgkmcnt(0)
	v_mul_f64 v[22:23], s[26:27], v[4:5]
	v_mul_f64 v[4:5], s[24:25], v[4:5]
	v_fma_f64 v[22:23], s[24:25], v[2:3], -v[22:23]
	v_fmac_f64_e32 v[4:5], s[26:27], v[2:3]
	s_waitcnt vmcnt(0)
	v_mul_f64 v[2:3], s[18:19], v[18:19]
	v_mul_f64 v[18:19], s[16:17], v[18:19]
	v_fma_f64 v[2:3], s[16:17], v[16:17], -v[2:3]
	v_fmac_f64_e32 v[18:19], s[18:19], v[16:17]
	v_add_f64 v[2:3], v[22:23], v[2:3]
	v_add_f64 v[4:5], v[4:5], v[18:19]
	global_store_dwordx4 v[20:21], v[2:5], off
.LBB5_32:
	s_or_b64 exec, exec, s[4:5]
	s_waitcnt lgkmcnt(3)
	ds_bpermute_b32 v2, v7, v14
	s_waitcnt lgkmcnt(3)
	ds_bpermute_b32 v3, v7, v15
	s_waitcnt lgkmcnt(3)
	ds_bpermute_b32 v4, v7, v12
	s_waitcnt lgkmcnt(3)
	ds_bpermute_b32 v5, v7, v13
	v_or_b32_e32 v12, 8, v33
	v_cmp_lt_i32_e64 s[0:1], v12, v32
	s_and_b64 s[0:1], vcc, s[0:1]
	s_and_saveexec_b64 s[4:5], s[0:1]
	s_cbranch_execz .LBB5_34
; %bb.33:
	v_mad_u64_u32 v[12:13], s[0:1], v12, s2, v[0:1]
	v_ashrrev_i32_e32 v13, 31, v12
	v_lshlrev_b64 v[12:13], 4, v[12:13]
	v_add_co_u32_e64 v16, s[0:1], v1, v12
	v_addc_co_u32_e64 v17, s[0:1], v6, v13, s[0:1]
	global_load_dwordx4 v[12:15], v[16:17], off
	s_waitcnt lgkmcnt(0)
	v_mul_f64 v[18:19], s[26:27], v[4:5]
	v_mul_f64 v[4:5], s[24:25], v[4:5]
	v_fma_f64 v[18:19], s[24:25], v[2:3], -v[18:19]
	v_fmac_f64_e32 v[4:5], s[26:27], v[2:3]
	s_waitcnt vmcnt(0)
	v_mul_f64 v[2:3], s[18:19], v[14:15]
	v_mul_f64 v[14:15], s[16:17], v[14:15]
	v_fma_f64 v[2:3], s[16:17], v[12:13], -v[2:3]
	v_fmac_f64_e32 v[14:15], s[18:19], v[12:13]
	v_add_f64 v[2:3], v[18:19], v[2:3]
	v_add_f64 v[4:5], v[4:5], v[14:15]
	global_store_dwordx4 v[16:17], v[2:5], off
.LBB5_34:
	s_or_b64 exec, exec, s[4:5]
	s_waitcnt lgkmcnt(3)
	ds_bpermute_b32 v2, v7, v10
	s_waitcnt lgkmcnt(3)
	ds_bpermute_b32 v3, v7, v11
	s_waitcnt lgkmcnt(3)
	ds_bpermute_b32 v4, v7, v8
	s_waitcnt lgkmcnt(3)
	ds_bpermute_b32 v5, v7, v9
	v_or_b32_e32 v7, 12, v33
	v_cmp_lt_i32_e64 s[0:1], v7, v32
	s_and_b64 s[0:1], vcc, s[0:1]
	s_and_b64 exec, exec, s[0:1]
	s_cbranch_execz .LBB5_36
; %bb.35:
	v_mad_u64_u32 v[8:9], s[0:1], v7, s2, v[0:1]
	v_ashrrev_i32_e32 v9, 31, v8
	v_lshlrev_b64 v[8:9], 4, v[8:9]
	v_add_co_u32_e32 v10, vcc, v1, v8
	v_addc_co_u32_e32 v11, vcc, v6, v9, vcc
	global_load_dwordx4 v[6:9], v[10:11], off
	s_waitcnt lgkmcnt(0)
	v_mul_f64 v[0:1], s[26:27], v[4:5]
	v_mul_f64 v[4:5], s[24:25], v[4:5]
	v_fma_f64 v[0:1], s[24:25], v[2:3], -v[0:1]
	v_fmac_f64_e32 v[4:5], s[26:27], v[2:3]
	s_waitcnt vmcnt(0)
	v_mul_f64 v[2:3], s[18:19], v[8:9]
	v_mul_f64 v[8:9], s[16:17], v[8:9]
	v_fma_f64 v[2:3], s[16:17], v[6:7], -v[2:3]
	v_fmac_f64_e32 v[8:9], s[18:19], v[6:7]
	v_add_f64 v[0:1], v[0:1], v[2:3]
	v_add_f64 v[2:3], v[4:5], v[8:9]
	global_store_dwordx4 v[10:11], v[0:3], off
.LBB5_36:
	s_endpgm
	.section	.rodata,"a",@progbits
	.p2align	6, 0x0
	.amdhsa_kernel _ZN9rocsolver6v33100L16mfma_gemm_kernelI19rocblas_complex_numIdEiS3_PKPS3_S6_S6_EEv18rocblas_operation_S7_T0_S8_S8_T1_T2_lS8_S8_lT3_lS8_S8_lS9_T4_lS8_S8_l
		.amdhsa_group_segment_fixed_size 0
		.amdhsa_private_segment_fixed_size 0
		.amdhsa_kernarg_size 408
		.amdhsa_user_sgpr_count 6
		.amdhsa_user_sgpr_private_segment_buffer 1
		.amdhsa_user_sgpr_dispatch_ptr 0
		.amdhsa_user_sgpr_queue_ptr 0
		.amdhsa_user_sgpr_kernarg_segment_ptr 1
		.amdhsa_user_sgpr_dispatch_id 0
		.amdhsa_user_sgpr_flat_scratch_init 0
		.amdhsa_user_sgpr_kernarg_preload_length 0
		.amdhsa_user_sgpr_kernarg_preload_offset 0
		.amdhsa_user_sgpr_private_segment_size 0
		.amdhsa_uses_dynamic_stack 0
		.amdhsa_system_sgpr_private_segment_wavefront_offset 0
		.amdhsa_system_sgpr_workgroup_id_x 1
		.amdhsa_system_sgpr_workgroup_id_y 1
		.amdhsa_system_sgpr_workgroup_id_z 1
		.amdhsa_system_sgpr_workgroup_info 0
		.amdhsa_system_vgpr_workitem_id 1
		.amdhsa_next_free_vgpr 62
		.amdhsa_next_free_sgpr 43
		.amdhsa_accum_offset 64
		.amdhsa_reserve_vcc 1
		.amdhsa_reserve_flat_scratch 0
		.amdhsa_float_round_mode_32 0
		.amdhsa_float_round_mode_16_64 0
		.amdhsa_float_denorm_mode_32 3
		.amdhsa_float_denorm_mode_16_64 3
		.amdhsa_dx10_clamp 1
		.amdhsa_ieee_mode 1
		.amdhsa_fp16_overflow 0
		.amdhsa_tg_split 0
		.amdhsa_exception_fp_ieee_invalid_op 0
		.amdhsa_exception_fp_denorm_src 0
		.amdhsa_exception_fp_ieee_div_zero 0
		.amdhsa_exception_fp_ieee_overflow 0
		.amdhsa_exception_fp_ieee_underflow 0
		.amdhsa_exception_fp_ieee_inexact 0
		.amdhsa_exception_int_div_zero 0
	.end_amdhsa_kernel
	.section	.text._ZN9rocsolver6v33100L16mfma_gemm_kernelI19rocblas_complex_numIdEiS3_PKPS3_S6_S6_EEv18rocblas_operation_S7_T0_S8_S8_T1_T2_lS8_S8_lT3_lS8_S8_lS9_T4_lS8_S8_l,"axG",@progbits,_ZN9rocsolver6v33100L16mfma_gemm_kernelI19rocblas_complex_numIdEiS3_PKPS3_S6_S6_EEv18rocblas_operation_S7_T0_S8_S8_T1_T2_lS8_S8_lT3_lS8_S8_lS9_T4_lS8_S8_l,comdat
.Lfunc_end5:
	.size	_ZN9rocsolver6v33100L16mfma_gemm_kernelI19rocblas_complex_numIdEiS3_PKPS3_S6_S6_EEv18rocblas_operation_S7_T0_S8_S8_T1_T2_lS8_S8_lT3_lS8_S8_lS9_T4_lS8_S8_l, .Lfunc_end5-_ZN9rocsolver6v33100L16mfma_gemm_kernelI19rocblas_complex_numIdEiS3_PKPS3_S6_S6_EEv18rocblas_operation_S7_T0_S8_S8_T1_T2_lS8_S8_lT3_lS8_S8_lS9_T4_lS8_S8_l
                                        ; -- End function
	.section	.AMDGPU.csdata,"",@progbits
; Kernel info:
; codeLenInByte = 2416
; NumSgprs: 47
; NumVgprs: 62
; NumAgprs: 0
; TotalNumVgprs: 62
; ScratchSize: 0
; MemoryBound: 1
; FloatMode: 240
; IeeeMode: 1
; LDSByteSize: 0 bytes/workgroup (compile time only)
; SGPRBlocks: 5
; VGPRBlocks: 7
; NumSGPRsForWavesPerEU: 47
; NumVGPRsForWavesPerEU: 62
; AccumOffset: 64
; Occupancy: 8
; WaveLimiterHint : 1
; COMPUTE_PGM_RSRC2:SCRATCH_EN: 0
; COMPUTE_PGM_RSRC2:USER_SGPR: 6
; COMPUTE_PGM_RSRC2:TRAP_HANDLER: 0
; COMPUTE_PGM_RSRC2:TGID_X_EN: 1
; COMPUTE_PGM_RSRC2:TGID_Y_EN: 1
; COMPUTE_PGM_RSRC2:TGID_Z_EN: 1
; COMPUTE_PGM_RSRC2:TIDIG_COMP_CNT: 1
; COMPUTE_PGM_RSRC3_GFX90A:ACCUM_OFFSET: 15
; COMPUTE_PGM_RSRC3_GFX90A:TG_SPLIT: 0
	.section	.text._ZN9rocsolver6v33100L11gemm_kernelI19rocblas_complex_numIdEiPKS3_PKPS3_S8_S8_EEvT0_S9_S9_T1_bT2_lS9_S9_lbT3_lS9_S9_lSA_T4_lS9_S9_l,"axG",@progbits,_ZN9rocsolver6v33100L11gemm_kernelI19rocblas_complex_numIdEiPKS3_PKPS3_S8_S8_EEvT0_S9_S9_T1_bT2_lS9_S9_lbT3_lS9_S9_lSA_T4_lS9_S9_l,comdat
	.globl	_ZN9rocsolver6v33100L11gemm_kernelI19rocblas_complex_numIdEiPKS3_PKPS3_S8_S8_EEvT0_S9_S9_T1_bT2_lS9_S9_lbT3_lS9_S9_lSA_T4_lS9_S9_l ; -- Begin function _ZN9rocsolver6v33100L11gemm_kernelI19rocblas_complex_numIdEiPKS3_PKPS3_S8_S8_EEvT0_S9_S9_T1_bT2_lS9_S9_lbT3_lS9_S9_lSA_T4_lS9_S9_l
	.p2align	8
	.type	_ZN9rocsolver6v33100L11gemm_kernelI19rocblas_complex_numIdEiPKS3_PKPS3_S8_S8_EEvT0_S9_S9_T1_bT2_lS9_S9_lbT3_lS9_S9_lSA_T4_lS9_S9_l,@function
_ZN9rocsolver6v33100L11gemm_kernelI19rocblas_complex_numIdEiPKS3_PKPS3_S8_S8_EEvT0_S9_S9_T1_bT2_lS9_S9_lbT3_lS9_S9_lSA_T4_lS9_S9_l: ; @_ZN9rocsolver6v33100L11gemm_kernelI19rocblas_complex_numIdEiPKS3_PKPS3_S8_S8_EEvT0_S9_S9_T1_bT2_lS9_S9_lbT3_lS9_S9_lSA_T4_lS9_S9_l
; %bb.0:
	s_load_dword s0, s[4:5], 0x9c
	s_load_dwordx4 s[12:15], s[4:5], 0x0
	v_and_b32_e32 v1, 0x3ff, v0
	v_bfe_u32 v0, v0, 10, 10
	s_waitcnt lgkmcnt(0)
	s_lshr_b32 s1, s0, 16
	s_and_b32 s0, s0, 0xffff
	s_mul_i32 s6, s6, s0
	s_mul_i32 s7, s7, s1
	v_add_u32_e32 v8, s6, v1
	v_add_u32_e32 v9, s7, v0
	v_cmp_gt_i32_e32 vcc, s12, v8
	v_cmp_gt_i32_e64 s[0:1], s13, v9
	s_and_b64 s[0:1], vcc, s[0:1]
	s_and_saveexec_b64 s[2:3], s[0:1]
	s_cbranch_execz .LBB6_5
; %bb.1:
	s_load_dwordx4 s[16:19], s[4:5], 0x68
	s_load_dwordx2 s[20:21], s[4:5], 0x10
	s_load_dwordx2 s[6:7], s[4:5], 0x78
	s_ashr_i32 s9, s8, 31
	s_lshl_b64 s[0:1], s[8:9], 3
	s_waitcnt lgkmcnt(0)
	s_add_u32 s2, s18, s0
	s_addc_u32 s3, s19, s1
	s_load_dwordx2 s[12:13], s[2:3], 0x0
	v_pk_mov_b32 v[0:1], 0, 0
	s_cmp_lt_i32 s14, 1
	v_pk_mov_b32 v[2:3], v[0:1], v[0:1] op_sel:[0,1]
	s_cbranch_scc1 .LBB6_4
; %bb.2:
	s_load_dwordx4 s[24:27], s[4:5], 0x20
	s_load_dword s15, s[4:5], 0x18
	s_load_dwordx2 s[18:19], s[4:5], 0x30
	s_load_dword s30, s[4:5], 0x40
	s_load_dwordx4 s[8:11], s[4:5], 0x48
	s_waitcnt lgkmcnt(0)
	s_add_u32 s2, s24, s0
	s_addc_u32 s3, s25, s1
	s_load_dwordx2 s[22:23], s[2:3], 0x0
	s_load_dwordx2 s[24:25], s[4:5], 0x58
	v_mul_lo_u32 v0, v8, s18
	s_add_u32 s0, s8, s0
	s_addc_u32 s1, s9, s1
	s_bitcmp1_b32 s15, 0
	s_cselect_b64 vcc, -1, 0
	s_bitcmp1_b32 s30, 0
	s_load_dwordx2 s[28:29], s[0:1], 0x0
	s_cselect_b64 s[0:1], -1, 0
	s_lshl_b64 s[2:3], s[26:27], 4
	v_ashrrev_i32_e32 v1, 31, v0
	s_waitcnt lgkmcnt(0)
	s_add_u32 s2, s22, s2
	v_lshlrev_b64 v[0:1], 4, v[0:1]
	s_addc_u32 s3, s23, s3
	v_mov_b32_e32 v3, s3
	v_add_co_u32_e64 v0, s[2:3], s2, v0
	v_addc_co_u32_e64 v1, s[2:3], v3, v1, s[2:3]
	v_add_co_u32_e64 v4, s[2:3], 8, v0
	v_addc_co_u32_e64 v5, s[2:3], 0, v1, s[2:3]
	s_ashr_i32 s3, s19, 31
	s_mov_b32 s2, s19
	v_mul_lo_u32 v2, v9, s25
	s_lshl_b64 s[8:9], s[2:3], 4
	s_lshl_b64 s[2:3], s[10:11], 4
	v_ashrrev_i32_e32 v3, 31, v2
	s_add_u32 s2, s28, s2
	v_lshlrev_b64 v[0:1], 4, v[2:3]
	s_addc_u32 s3, s29, s3
	v_mov_b32_e32 v2, s3
	v_add_co_u32_e64 v0, s[2:3], s2, v0
	v_addc_co_u32_e64 v1, s[2:3], v2, v1, s[2:3]
	v_add_co_u32_e64 v6, s[2:3], 8, v0
	s_ashr_i32 s25, s24, 31
	v_addc_co_u32_e64 v7, s[2:3], 0, v1, s[2:3]
	s_lshl_b64 s[10:11], s[24:25], 4
	v_pk_mov_b32 v[0:1], 0, 0
	v_mov_b32_e32 v10, s9
	v_mov_b32_e32 v11, s11
	v_pk_mov_b32 v[2:3], v[0:1], v[0:1] op_sel:[0,1]
.LBB6_3:                                ; =>This Inner Loop Header: Depth=1
	global_load_dwordx4 v[12:15], v[4:5], off offset:-8
	global_load_dwordx4 v[16:19], v[6:7], off offset:-8
	v_add_co_u32_e64 v4, s[2:3], s8, v4
	v_addc_co_u32_e64 v5, s[2:3], v5, v10, s[2:3]
	s_add_i32 s14, s14, -1
	v_add_co_u32_e64 v6, s[2:3], s10, v6
	v_addc_co_u32_e64 v7, s[2:3], v7, v11, s[2:3]
	s_cmp_eq_u32 s14, 0
	s_waitcnt vmcnt(1)
	v_xor_b32_e32 v20, 0x80000000, v15
	s_waitcnt vmcnt(0)
	v_xor_b32_e32 v21, 0x80000000, v19
	v_cndmask_b32_e32 v15, v15, v20, vcc
	v_cndmask_b32_e64 v19, v19, v21, s[0:1]
	v_mul_f64 v[20:21], v[14:15], v[18:19]
	v_mul_f64 v[14:15], v[14:15], v[16:17]
	v_fma_f64 v[16:17], v[12:13], v[16:17], -v[20:21]
	v_fmac_f64_e32 v[14:15], v[12:13], v[18:19]
	v_add_f64 v[2:3], v[2:3], v[16:17]
	v_add_f64 v[0:1], v[0:1], v[14:15]
	s_cbranch_scc0 .LBB6_3
.LBB6_4:
	s_load_dwordx4 s[8:11], s[20:21], 0x0
	s_load_dwordx4 s[0:3], s[16:17], 0x0
                                        ; kill: killed $sgpr20_sgpr21
                                        ; kill: killed $sgpr16_sgpr17
	s_nop 0
	s_load_dwordx2 s[4:5], s[4:5], 0x80
	s_lshl_b64 s[6:7], s[6:7], 4
	s_waitcnt lgkmcnt(0)
	s_add_u32 s6, s12, s6
	s_addc_u32 s7, s13, s7
	v_mov_b32_e32 v6, s7
	v_mul_lo_u32 v4, v8, s4
	v_mad_u64_u32 v[4:5], s[4:5], v9, s5, v[4:5]
	v_ashrrev_i32_e32 v5, 31, v4
	v_lshlrev_b64 v[4:5], 4, v[4:5]
	v_add_co_u32_e32 v8, vcc, s6, v4
	v_addc_co_u32_e32 v9, vcc, v6, v5, vcc
	global_load_dwordx4 v[4:7], v[8:9], off
	v_mul_f64 v[10:11], s[10:11], v[0:1]
	v_mul_f64 v[12:13], s[8:9], v[0:1]
	v_fma_f64 v[0:1], s[8:9], v[2:3], -v[10:11]
	v_fmac_f64_e32 v[12:13], s[10:11], v[2:3]
	s_waitcnt vmcnt(0)
	v_mul_f64 v[2:3], s[2:3], v[6:7]
	v_mul_f64 v[6:7], s[0:1], v[6:7]
	v_fma_f64 v[2:3], s[0:1], v[4:5], -v[2:3]
	v_fmac_f64_e32 v[6:7], s[2:3], v[4:5]
	v_add_f64 v[0:1], v[0:1], v[2:3]
	v_add_f64 v[2:3], v[12:13], v[6:7]
	global_store_dwordx4 v[8:9], v[0:3], off
.LBB6_5:
	s_endpgm
	.section	.rodata,"a",@progbits
	.p2align	6, 0x0
	.amdhsa_kernel _ZN9rocsolver6v33100L11gemm_kernelI19rocblas_complex_numIdEiPKS3_PKPS3_S8_S8_EEvT0_S9_S9_T1_bT2_lS9_S9_lbT3_lS9_S9_lSA_T4_lS9_S9_l
		.amdhsa_group_segment_fixed_size 0
		.amdhsa_private_segment_fixed_size 0
		.amdhsa_kernarg_size 400
		.amdhsa_user_sgpr_count 6
		.amdhsa_user_sgpr_private_segment_buffer 1
		.amdhsa_user_sgpr_dispatch_ptr 0
		.amdhsa_user_sgpr_queue_ptr 0
		.amdhsa_user_sgpr_kernarg_segment_ptr 1
		.amdhsa_user_sgpr_dispatch_id 0
		.amdhsa_user_sgpr_flat_scratch_init 0
		.amdhsa_user_sgpr_kernarg_preload_length 0
		.amdhsa_user_sgpr_kernarg_preload_offset 0
		.amdhsa_user_sgpr_private_segment_size 0
		.amdhsa_uses_dynamic_stack 0
		.amdhsa_system_sgpr_private_segment_wavefront_offset 0
		.amdhsa_system_sgpr_workgroup_id_x 1
		.amdhsa_system_sgpr_workgroup_id_y 1
		.amdhsa_system_sgpr_workgroup_id_z 1
		.amdhsa_system_sgpr_workgroup_info 0
		.amdhsa_system_vgpr_workitem_id 1
		.amdhsa_next_free_vgpr 22
		.amdhsa_next_free_sgpr 31
		.amdhsa_accum_offset 24
		.amdhsa_reserve_vcc 1
		.amdhsa_reserve_flat_scratch 0
		.amdhsa_float_round_mode_32 0
		.amdhsa_float_round_mode_16_64 0
		.amdhsa_float_denorm_mode_32 3
		.amdhsa_float_denorm_mode_16_64 3
		.amdhsa_dx10_clamp 1
		.amdhsa_ieee_mode 1
		.amdhsa_fp16_overflow 0
		.amdhsa_tg_split 0
		.amdhsa_exception_fp_ieee_invalid_op 0
		.amdhsa_exception_fp_denorm_src 0
		.amdhsa_exception_fp_ieee_div_zero 0
		.amdhsa_exception_fp_ieee_overflow 0
		.amdhsa_exception_fp_ieee_underflow 0
		.amdhsa_exception_fp_ieee_inexact 0
		.amdhsa_exception_int_div_zero 0
	.end_amdhsa_kernel
	.section	.text._ZN9rocsolver6v33100L11gemm_kernelI19rocblas_complex_numIdEiPKS3_PKPS3_S8_S8_EEvT0_S9_S9_T1_bT2_lS9_S9_lbT3_lS9_S9_lSA_T4_lS9_S9_l,"axG",@progbits,_ZN9rocsolver6v33100L11gemm_kernelI19rocblas_complex_numIdEiPKS3_PKPS3_S8_S8_EEvT0_S9_S9_T1_bT2_lS9_S9_lbT3_lS9_S9_lSA_T4_lS9_S9_l,comdat
.Lfunc_end6:
	.size	_ZN9rocsolver6v33100L11gemm_kernelI19rocblas_complex_numIdEiPKS3_PKPS3_S8_S8_EEvT0_S9_S9_T1_bT2_lS9_S9_lbT3_lS9_S9_lSA_T4_lS9_S9_l, .Lfunc_end6-_ZN9rocsolver6v33100L11gemm_kernelI19rocblas_complex_numIdEiPKS3_PKPS3_S8_S8_EEvT0_S9_S9_T1_bT2_lS9_S9_lbT3_lS9_S9_lSA_T4_lS9_S9_l
                                        ; -- End function
	.section	.AMDGPU.csdata,"",@progbits
; Kernel info:
; codeLenInByte = 768
; NumSgprs: 35
; NumVgprs: 22
; NumAgprs: 0
; TotalNumVgprs: 22
; ScratchSize: 0
; MemoryBound: 0
; FloatMode: 240
; IeeeMode: 1
; LDSByteSize: 0 bytes/workgroup (compile time only)
; SGPRBlocks: 4
; VGPRBlocks: 2
; NumSGPRsForWavesPerEU: 35
; NumVGPRsForWavesPerEU: 22
; AccumOffset: 24
; Occupancy: 8
; WaveLimiterHint : 1
; COMPUTE_PGM_RSRC2:SCRATCH_EN: 0
; COMPUTE_PGM_RSRC2:USER_SGPR: 6
; COMPUTE_PGM_RSRC2:TRAP_HANDLER: 0
; COMPUTE_PGM_RSRC2:TGID_X_EN: 1
; COMPUTE_PGM_RSRC2:TGID_Y_EN: 1
; COMPUTE_PGM_RSRC2:TGID_Z_EN: 1
; COMPUTE_PGM_RSRC2:TIDIG_COMP_CNT: 1
; COMPUTE_PGM_RSRC3_GFX90A:ACCUM_OFFSET: 5
; COMPUTE_PGM_RSRC3_GFX90A:TG_SPLIT: 0
	.section	.text._ZN9rocsolver6v33100L11gemm_kernelI19rocblas_complex_numIdEiS3_PKPS3_S6_S6_EEvT0_S7_S7_T1_bT2_lS7_S7_lbT3_lS7_S7_lS8_T4_lS7_S7_l,"axG",@progbits,_ZN9rocsolver6v33100L11gemm_kernelI19rocblas_complex_numIdEiS3_PKPS3_S6_S6_EEvT0_S7_S7_T1_bT2_lS7_S7_lbT3_lS7_S7_lS8_T4_lS7_S7_l,comdat
	.globl	_ZN9rocsolver6v33100L11gemm_kernelI19rocblas_complex_numIdEiS3_PKPS3_S6_S6_EEvT0_S7_S7_T1_bT2_lS7_S7_lbT3_lS7_S7_lS8_T4_lS7_S7_l ; -- Begin function _ZN9rocsolver6v33100L11gemm_kernelI19rocblas_complex_numIdEiS3_PKPS3_S6_S6_EEvT0_S7_S7_T1_bT2_lS7_S7_lbT3_lS7_S7_lS8_T4_lS7_S7_l
	.p2align	8
	.type	_ZN9rocsolver6v33100L11gemm_kernelI19rocblas_complex_numIdEiS3_PKPS3_S6_S6_EEvT0_S7_S7_T1_bT2_lS7_S7_lbT3_lS7_S7_lS8_T4_lS7_S7_l,@function
_ZN9rocsolver6v33100L11gemm_kernelI19rocblas_complex_numIdEiS3_PKPS3_S6_S6_EEvT0_S7_S7_T1_bT2_lS7_S7_lbT3_lS7_S7_lS8_T4_lS7_S7_l: ; @_ZN9rocsolver6v33100L11gemm_kernelI19rocblas_complex_numIdEiS3_PKPS3_S6_S6_EEvT0_S7_S7_T1_bT2_lS7_S7_lbT3_lS7_S7_lS8_T4_lS7_S7_l
; %bb.0:
	s_load_dword s0, s[4:5], 0xac
	s_load_dwordx4 s[20:23], s[4:5], 0x0
	v_and_b32_e32 v1, 0x3ff, v0
	v_bfe_u32 v0, v0, 10, 10
	s_waitcnt lgkmcnt(0)
	s_lshr_b32 s1, s0, 16
	s_and_b32 s0, s0, 0xffff
	s_mul_i32 s6, s6, s0
	s_mul_i32 s7, s7, s1
	v_add_u32_e32 v8, s6, v1
	v_add_u32_e32 v9, s7, v0
	v_cmp_gt_i32_e32 vcc, s20, v8
	v_cmp_gt_i32_e64 s[0:1], s21, v9
	s_and_b64 s[0:1], vcc, s[0:1]
	s_and_saveexec_b64 s[2:3], s[0:1]
	s_cbranch_execz .LBB7_5
; %bb.1:
	s_load_dwordx8 s[12:19], s[4:5], 0x70
	s_ashr_i32 s9, s8, 31
	s_lshl_b64 s[0:1], s[8:9], 3
	v_pk_mov_b32 v[0:1], 0, 0
	v_pk_mov_b32 v[2:3], v[0:1], v[0:1] op_sel:[0,1]
	s_waitcnt lgkmcnt(0)
	s_add_u32 s2, s16, s0
	s_addc_u32 s3, s17, s1
	s_load_dwordx2 s[6:7], s[2:3], 0x0
	s_cmp_lt_i32 s22, 1
	s_cbranch_scc1 .LBB7_4
; %bb.2:
	s_load_dwordx4 s[24:27], s[4:5], 0x28
	s_load_dword s23, s[4:5], 0x20
	s_load_dwordx2 s[16:17], s[4:5], 0x38
	s_load_dword s30, s[4:5], 0x48
	s_load_dwordx4 s[8:11], s[4:5], 0x50
	s_waitcnt lgkmcnt(0)
	s_add_u32 s2, s24, s0
	s_addc_u32 s3, s25, s1
	s_load_dwordx2 s[20:21], s[2:3], 0x0
	s_load_dwordx2 s[24:25], s[4:5], 0x60
	v_mul_lo_u32 v0, v8, s16
	s_add_u32 s0, s8, s0
	s_addc_u32 s1, s9, s1
	s_bitcmp1_b32 s23, 0
	s_cselect_b64 vcc, -1, 0
	s_bitcmp1_b32 s30, 0
	s_load_dwordx2 s[28:29], s[0:1], 0x0
	s_cselect_b64 s[0:1], -1, 0
	s_lshl_b64 s[2:3], s[26:27], 4
	v_ashrrev_i32_e32 v1, 31, v0
	s_waitcnt lgkmcnt(0)
	s_add_u32 s2, s20, s2
	v_lshlrev_b64 v[0:1], 4, v[0:1]
	s_addc_u32 s3, s21, s3
	v_mov_b32_e32 v3, s3
	v_add_co_u32_e64 v0, s[2:3], s2, v0
	v_addc_co_u32_e64 v1, s[2:3], v3, v1, s[2:3]
	v_add_co_u32_e64 v4, s[2:3], 8, v0
	v_addc_co_u32_e64 v5, s[2:3], 0, v1, s[2:3]
	s_ashr_i32 s3, s17, 31
	s_mov_b32 s2, s17
	v_mul_lo_u32 v2, v9, s25
	s_lshl_b64 s[8:9], s[2:3], 4
	s_lshl_b64 s[2:3], s[10:11], 4
	v_ashrrev_i32_e32 v3, 31, v2
	s_add_u32 s2, s28, s2
	v_lshlrev_b64 v[0:1], 4, v[2:3]
	s_addc_u32 s3, s29, s3
	v_mov_b32_e32 v2, s3
	v_add_co_u32_e64 v0, s[2:3], s2, v0
	v_addc_co_u32_e64 v1, s[2:3], v2, v1, s[2:3]
	v_add_co_u32_e64 v6, s[2:3], 8, v0
	s_ashr_i32 s25, s24, 31
	v_addc_co_u32_e64 v7, s[2:3], 0, v1, s[2:3]
	s_lshl_b64 s[10:11], s[24:25], 4
	v_pk_mov_b32 v[0:1], 0, 0
	v_mov_b32_e32 v10, s9
	v_mov_b32_e32 v11, s11
	v_pk_mov_b32 v[2:3], v[0:1], v[0:1] op_sel:[0,1]
.LBB7_3:                                ; =>This Inner Loop Header: Depth=1
	global_load_dwordx4 v[12:15], v[4:5], off offset:-8
	global_load_dwordx4 v[16:19], v[6:7], off offset:-8
	v_add_co_u32_e64 v4, s[2:3], s8, v4
	v_addc_co_u32_e64 v5, s[2:3], v5, v10, s[2:3]
	s_add_i32 s22, s22, -1
	v_add_co_u32_e64 v6, s[2:3], s10, v6
	v_addc_co_u32_e64 v7, s[2:3], v7, v11, s[2:3]
	s_cmp_eq_u32 s22, 0
	s_waitcnt vmcnt(1)
	v_xor_b32_e32 v20, 0x80000000, v15
	s_waitcnt vmcnt(0)
	v_xor_b32_e32 v21, 0x80000000, v19
	v_cndmask_b32_e32 v15, v15, v20, vcc
	v_cndmask_b32_e64 v19, v19, v21, s[0:1]
	v_mul_f64 v[20:21], v[14:15], v[18:19]
	v_mul_f64 v[14:15], v[14:15], v[16:17]
	v_fma_f64 v[16:17], v[12:13], v[16:17], -v[20:21]
	v_fmac_f64_e32 v[14:15], v[12:13], v[18:19]
	v_add_f64 v[2:3], v[2:3], v[16:17]
	v_add_f64 v[0:1], v[0:1], v[14:15]
	s_cbranch_scc0 .LBB7_3
.LBB7_4:
	s_load_dwordx4 s[0:3], s[4:5], 0x10
	s_nop 0
	s_load_dwordx2 s[4:5], s[4:5], 0x90
	s_lshl_b64 s[8:9], s[18:19], 4
	s_waitcnt lgkmcnt(0)
	s_add_u32 s6, s6, s8
	s_addc_u32 s7, s7, s9
	v_mov_b32_e32 v6, s7
	v_mul_lo_u32 v4, v8, s4
	v_mad_u64_u32 v[4:5], s[4:5], v9, s5, v[4:5]
	v_ashrrev_i32_e32 v5, 31, v4
	v_lshlrev_b64 v[4:5], 4, v[4:5]
	v_add_co_u32_e32 v8, vcc, s6, v4
	v_addc_co_u32_e32 v9, vcc, v6, v5, vcc
	global_load_dwordx4 v[4:7], v[8:9], off
	v_mul_f64 v[10:11], s[2:3], v[0:1]
	v_mul_f64 v[12:13], s[0:1], v[0:1]
	v_fma_f64 v[0:1], s[0:1], v[2:3], -v[10:11]
	v_fmac_f64_e32 v[12:13], s[2:3], v[2:3]
	s_waitcnt vmcnt(0)
	v_mul_f64 v[2:3], s[14:15], v[6:7]
	v_mul_f64 v[6:7], s[12:13], v[6:7]
	v_fma_f64 v[2:3], s[12:13], v[4:5], -v[2:3]
	v_fmac_f64_e32 v[6:7], s[14:15], v[4:5]
	v_add_f64 v[0:1], v[0:1], v[2:3]
	v_add_f64 v[2:3], v[12:13], v[6:7]
	global_store_dwordx4 v[8:9], v[0:3], off
.LBB7_5:
	s_endpgm
	.section	.rodata,"a",@progbits
	.p2align	6, 0x0
	.amdhsa_kernel _ZN9rocsolver6v33100L11gemm_kernelI19rocblas_complex_numIdEiS3_PKPS3_S6_S6_EEvT0_S7_S7_T1_bT2_lS7_S7_lbT3_lS7_S7_lS8_T4_lS7_S7_l
		.amdhsa_group_segment_fixed_size 0
		.amdhsa_private_segment_fixed_size 0
		.amdhsa_kernarg_size 416
		.amdhsa_user_sgpr_count 6
		.amdhsa_user_sgpr_private_segment_buffer 1
		.amdhsa_user_sgpr_dispatch_ptr 0
		.amdhsa_user_sgpr_queue_ptr 0
		.amdhsa_user_sgpr_kernarg_segment_ptr 1
		.amdhsa_user_sgpr_dispatch_id 0
		.amdhsa_user_sgpr_flat_scratch_init 0
		.amdhsa_user_sgpr_kernarg_preload_length 0
		.amdhsa_user_sgpr_kernarg_preload_offset 0
		.amdhsa_user_sgpr_private_segment_size 0
		.amdhsa_uses_dynamic_stack 0
		.amdhsa_system_sgpr_private_segment_wavefront_offset 0
		.amdhsa_system_sgpr_workgroup_id_x 1
		.amdhsa_system_sgpr_workgroup_id_y 1
		.amdhsa_system_sgpr_workgroup_id_z 1
		.amdhsa_system_sgpr_workgroup_info 0
		.amdhsa_system_vgpr_workitem_id 1
		.amdhsa_next_free_vgpr 22
		.amdhsa_next_free_sgpr 31
		.amdhsa_accum_offset 24
		.amdhsa_reserve_vcc 1
		.amdhsa_reserve_flat_scratch 0
		.amdhsa_float_round_mode_32 0
		.amdhsa_float_round_mode_16_64 0
		.amdhsa_float_denorm_mode_32 3
		.amdhsa_float_denorm_mode_16_64 3
		.amdhsa_dx10_clamp 1
		.amdhsa_ieee_mode 1
		.amdhsa_fp16_overflow 0
		.amdhsa_tg_split 0
		.amdhsa_exception_fp_ieee_invalid_op 0
		.amdhsa_exception_fp_denorm_src 0
		.amdhsa_exception_fp_ieee_div_zero 0
		.amdhsa_exception_fp_ieee_overflow 0
		.amdhsa_exception_fp_ieee_underflow 0
		.amdhsa_exception_fp_ieee_inexact 0
		.amdhsa_exception_int_div_zero 0
	.end_amdhsa_kernel
	.section	.text._ZN9rocsolver6v33100L11gemm_kernelI19rocblas_complex_numIdEiS3_PKPS3_S6_S6_EEvT0_S7_S7_T1_bT2_lS7_S7_lbT3_lS7_S7_lS8_T4_lS7_S7_l,"axG",@progbits,_ZN9rocsolver6v33100L11gemm_kernelI19rocblas_complex_numIdEiS3_PKPS3_S6_S6_EEvT0_S7_S7_T1_bT2_lS7_S7_lbT3_lS7_S7_lS8_T4_lS7_S7_l,comdat
.Lfunc_end7:
	.size	_ZN9rocsolver6v33100L11gemm_kernelI19rocblas_complex_numIdEiS3_PKPS3_S6_S6_EEvT0_S7_S7_T1_bT2_lS7_S7_lbT3_lS7_S7_lS8_T4_lS7_S7_l, .Lfunc_end7-_ZN9rocsolver6v33100L11gemm_kernelI19rocblas_complex_numIdEiS3_PKPS3_S6_S6_EEvT0_S7_S7_T1_bT2_lS7_S7_lbT3_lS7_S7_lS8_T4_lS7_S7_l
                                        ; -- End function
	.section	.AMDGPU.csdata,"",@progbits
; Kernel info:
; codeLenInByte = 744
; NumSgprs: 35
; NumVgprs: 22
; NumAgprs: 0
; TotalNumVgprs: 22
; ScratchSize: 0
; MemoryBound: 0
; FloatMode: 240
; IeeeMode: 1
; LDSByteSize: 0 bytes/workgroup (compile time only)
; SGPRBlocks: 4
; VGPRBlocks: 2
; NumSGPRsForWavesPerEU: 35
; NumVGPRsForWavesPerEU: 22
; AccumOffset: 24
; Occupancy: 8
; WaveLimiterHint : 1
; COMPUTE_PGM_RSRC2:SCRATCH_EN: 0
; COMPUTE_PGM_RSRC2:USER_SGPR: 6
; COMPUTE_PGM_RSRC2:TRAP_HANDLER: 0
; COMPUTE_PGM_RSRC2:TGID_X_EN: 1
; COMPUTE_PGM_RSRC2:TGID_Y_EN: 1
; COMPUTE_PGM_RSRC2:TGID_Z_EN: 1
; COMPUTE_PGM_RSRC2:TIDIG_COMP_CNT: 1
; COMPUTE_PGM_RSRC3_GFX90A:ACCUM_OFFSET: 5
; COMPUTE_PGM_RSRC3_GFX90A:TG_SPLIT: 0
	.section	.text._ZN9rocsolver6v33100L9get_arrayI19rocblas_complex_numIdEiEEvPPT_S5_lT0_,"axG",@progbits,_ZN9rocsolver6v33100L9get_arrayI19rocblas_complex_numIdEiEEvPPT_S5_lT0_,comdat
	.globl	_ZN9rocsolver6v33100L9get_arrayI19rocblas_complex_numIdEiEEvPPT_S5_lT0_ ; -- Begin function _ZN9rocsolver6v33100L9get_arrayI19rocblas_complex_numIdEiEEvPPT_S5_lT0_
	.p2align	8
	.type	_ZN9rocsolver6v33100L9get_arrayI19rocblas_complex_numIdEiEEvPPT_S5_lT0_,@function
_ZN9rocsolver6v33100L9get_arrayI19rocblas_complex_numIdEiEEvPPT_S5_lT0_: ; @_ZN9rocsolver6v33100L9get_arrayI19rocblas_complex_numIdEiEEvPPT_S5_lT0_
; %bb.0:
	s_load_dword s0, s[4:5], 0x2c
	s_load_dword s1, s[4:5], 0x18
	s_waitcnt lgkmcnt(0)
	s_and_b32 s0, s0, 0xffff
	s_mul_i32 s6, s6, s0
	v_add_u32_e32 v0, s6, v0
	v_cmp_gt_i32_e32 vcc, s1, v0
	s_and_saveexec_b64 s[0:1], vcc
	s_cbranch_execz .LBB8_2
; %bb.1:
	s_load_dwordx2 s[6:7], s[4:5], 0x10
	s_load_dwordx4 s[0:3], s[4:5], 0x0
	v_ashrrev_i32_e32 v1, 31, v0
	s_waitcnt lgkmcnt(0)
	v_mul_lo_u32 v4, v0, s7
	v_mul_lo_u32 v5, v1, s6
	v_mad_u64_u32 v[2:3], s[4:5], v0, s6, 0
	v_add3_u32 v3, v3, v4, v5
	v_lshlrev_b64 v[2:3], 4, v[2:3]
	v_mov_b32_e32 v4, s3
	v_add_co_u32_e32 v2, vcc, s2, v2
	v_addc_co_u32_e32 v3, vcc, v4, v3, vcc
	v_lshlrev_b64 v[0:1], 3, v[0:1]
	v_mov_b32_e32 v4, s1
	v_add_co_u32_e32 v0, vcc, s0, v0
	v_addc_co_u32_e32 v1, vcc, v4, v1, vcc
	global_store_dwordx2 v[0:1], v[2:3], off
.LBB8_2:
	s_endpgm
	.section	.rodata,"a",@progbits
	.p2align	6, 0x0
	.amdhsa_kernel _ZN9rocsolver6v33100L9get_arrayI19rocblas_complex_numIdEiEEvPPT_S5_lT0_
		.amdhsa_group_segment_fixed_size 0
		.amdhsa_private_segment_fixed_size 0
		.amdhsa_kernarg_size 288
		.amdhsa_user_sgpr_count 6
		.amdhsa_user_sgpr_private_segment_buffer 1
		.amdhsa_user_sgpr_dispatch_ptr 0
		.amdhsa_user_sgpr_queue_ptr 0
		.amdhsa_user_sgpr_kernarg_segment_ptr 1
		.amdhsa_user_sgpr_dispatch_id 0
		.amdhsa_user_sgpr_flat_scratch_init 0
		.amdhsa_user_sgpr_kernarg_preload_length 0
		.amdhsa_user_sgpr_kernarg_preload_offset 0
		.amdhsa_user_sgpr_private_segment_size 0
		.amdhsa_uses_dynamic_stack 0
		.amdhsa_system_sgpr_private_segment_wavefront_offset 0
		.amdhsa_system_sgpr_workgroup_id_x 1
		.amdhsa_system_sgpr_workgroup_id_y 0
		.amdhsa_system_sgpr_workgroup_id_z 0
		.amdhsa_system_sgpr_workgroup_info 0
		.amdhsa_system_vgpr_workitem_id 0
		.amdhsa_next_free_vgpr 6
		.amdhsa_next_free_sgpr 8
		.amdhsa_accum_offset 8
		.amdhsa_reserve_vcc 1
		.amdhsa_reserve_flat_scratch 0
		.amdhsa_float_round_mode_32 0
		.amdhsa_float_round_mode_16_64 0
		.amdhsa_float_denorm_mode_32 3
		.amdhsa_float_denorm_mode_16_64 3
		.amdhsa_dx10_clamp 1
		.amdhsa_ieee_mode 1
		.amdhsa_fp16_overflow 0
		.amdhsa_tg_split 0
		.amdhsa_exception_fp_ieee_invalid_op 0
		.amdhsa_exception_fp_denorm_src 0
		.amdhsa_exception_fp_ieee_div_zero 0
		.amdhsa_exception_fp_ieee_overflow 0
		.amdhsa_exception_fp_ieee_underflow 0
		.amdhsa_exception_fp_ieee_inexact 0
		.amdhsa_exception_int_div_zero 0
	.end_amdhsa_kernel
	.section	.text._ZN9rocsolver6v33100L9get_arrayI19rocblas_complex_numIdEiEEvPPT_S5_lT0_,"axG",@progbits,_ZN9rocsolver6v33100L9get_arrayI19rocblas_complex_numIdEiEEvPPT_S5_lT0_,comdat
.Lfunc_end8:
	.size	_ZN9rocsolver6v33100L9get_arrayI19rocblas_complex_numIdEiEEvPPT_S5_lT0_, .Lfunc_end8-_ZN9rocsolver6v33100L9get_arrayI19rocblas_complex_numIdEiEEvPPT_S5_lT0_
                                        ; -- End function
	.section	.AMDGPU.csdata,"",@progbits
; Kernel info:
; codeLenInByte = 156
; NumSgprs: 12
; NumVgprs: 6
; NumAgprs: 0
; TotalNumVgprs: 6
; ScratchSize: 0
; MemoryBound: 0
; FloatMode: 240
; IeeeMode: 1
; LDSByteSize: 0 bytes/workgroup (compile time only)
; SGPRBlocks: 1
; VGPRBlocks: 0
; NumSGPRsForWavesPerEU: 12
; NumVGPRsForWavesPerEU: 6
; AccumOffset: 8
; Occupancy: 8
; WaveLimiterHint : 0
; COMPUTE_PGM_RSRC2:SCRATCH_EN: 0
; COMPUTE_PGM_RSRC2:USER_SGPR: 6
; COMPUTE_PGM_RSRC2:TRAP_HANDLER: 0
; COMPUTE_PGM_RSRC2:TGID_X_EN: 1
; COMPUTE_PGM_RSRC2:TGID_Y_EN: 0
; COMPUTE_PGM_RSRC2:TGID_Z_EN: 0
; COMPUTE_PGM_RSRC2:TIDIG_COMP_CNT: 0
; COMPUTE_PGM_RSRC3_GFX90A:ACCUM_OFFSET: 1
; COMPUTE_PGM_RSRC3_GFX90A:TG_SPLIT: 0
	.section	.text._ZN9rocsolver6v33100L16mfma_gemm_kernelI19rocblas_complex_numIdEiPKS3_PS3_PKS6_S8_EEv18rocblas_operation_S9_T0_SA_SA_T1_T2_lSA_SA_lT3_lSA_SA_lSB_T4_lSA_SA_l,"axG",@progbits,_ZN9rocsolver6v33100L16mfma_gemm_kernelI19rocblas_complex_numIdEiPKS3_PS3_PKS6_S8_EEv18rocblas_operation_S9_T0_SA_SA_T1_T2_lSA_SA_lT3_lSA_SA_lSB_T4_lSA_SA_l,comdat
	.globl	_ZN9rocsolver6v33100L16mfma_gemm_kernelI19rocblas_complex_numIdEiPKS3_PS3_PKS6_S8_EEv18rocblas_operation_S9_T0_SA_SA_T1_T2_lSA_SA_lT3_lSA_SA_lSB_T4_lSA_SA_l ; -- Begin function _ZN9rocsolver6v33100L16mfma_gemm_kernelI19rocblas_complex_numIdEiPKS3_PS3_PKS6_S8_EEv18rocblas_operation_S9_T0_SA_SA_T1_T2_lSA_SA_lT3_lSA_SA_lSB_T4_lSA_SA_l
	.p2align	8
	.type	_ZN9rocsolver6v33100L16mfma_gemm_kernelI19rocblas_complex_numIdEiPKS3_PS3_PKS6_S8_EEv18rocblas_operation_S9_T0_SA_SA_T1_T2_lSA_SA_lT3_lSA_SA_lSB_T4_lSA_SA_l,@function
_ZN9rocsolver6v33100L16mfma_gemm_kernelI19rocblas_complex_numIdEiPKS3_PS3_PKS6_S8_EEv18rocblas_operation_S9_T0_SA_SA_T1_T2_lSA_SA_lT3_lSA_SA_lSB_T4_lSA_SA_l: ; @_ZN9rocsolver6v33100L16mfma_gemm_kernelI19rocblas_complex_numIdEiPKS3_PS3_PKS6_S8_EEv18rocblas_operation_S9_T0_SA_SA_T1_T2_lSA_SA_lT3_lSA_SA_lSB_T4_lSA_SA_l
; %bb.0:
	s_load_dword s0, s[4:5], 0x94
	s_load_dwordx4 s[28:31], s[4:5], 0x0
	v_and_b32_e32 v34, 0x3ff, v0
	v_bfe_u32 v0, v0, 10, 10
	v_lshrrev_b32_e32 v1, 6, v34
	s_waitcnt lgkmcnt(0)
	s_lshr_b32 s1, s0, 16
	s_bfe_u32 s0, s0, 0xa0006
	s_mul_i32 s7, s7, s1
	s_mul_i32 s6, s6, s0
	v_add_u32_e32 v0, s7, v0
	v_add_lshl_u32 v35, s6, v1, 4
	v_lshlrev_b32_e32 v36, 4, v0
	v_cmp_gt_i32_e32 vcc, s30, v35
	v_cmp_gt_i32_e64 s[0:1], s31, v36
	s_and_b64 s[0:1], vcc, s[0:1]
	s_and_saveexec_b64 s[2:3], s[0:1]
	s_cbranch_execz .LBB9_36
; %bb.1:
	s_ashr_i32 s6, s30, 31
	s_lshr_b32 s6, s6, 28
	s_add_i32 s6, s30, s6
	s_and_b32 s6, s6, -16
	s_sub_i32 s6, s30, s6
	v_mov_b32_e32 v1, s6
	s_ashr_i32 s6, s31, 31
	s_load_dword s33, s[4:5], 0x10
	s_load_dwordx4 s[0:3], s[4:5], 0x18
	s_load_dwordx2 s[34:35], s[4:5], 0x70
	s_load_dwordx4 s[12:15], s[4:5], 0x60
	s_lshr_b32 s6, s6, 28
	s_add_i32 s6, s31, s6
	v_add_u32_e32 v0, 16, v35
	s_and_b32 s6, s6, -16
	v_cmp_lt_i32_e32 vcc, s30, v0
	s_sub_i32 s6, s31, s6
	s_ashr_i32 s9, s8, 31
	v_cndmask_b32_e32 v32, 16, v1, vcc
	v_mov_b32_e32 v1, s6
	s_lshl_b64 s[6:7], s[8:9], 3
	s_waitcnt lgkmcnt(0)
	s_load_dwordx4 s[24:27], s[0:1], 0x0
	s_load_dwordx4 s[20:23], s[12:13], 0x0
	s_add_u32 s0, s14, s6
	v_add_u32_e32 v0, 16, v36
	s_addc_u32 s1, s15, s7
	v_cmp_lt_i32_e32 vcc, s31, v0
	s_load_dwordx2 s[30:31], s[0:1], 0x0
	v_cndmask_b32_e32 v37, 16, v1, vcc
	v_bfe_u32 v38, v34, 2, 4
	v_pk_mov_b32 v[20:21], 0, 0
	v_and_b32_e32 v33, 3, v34
	s_cmp_lt_i32 s33, 1
	v_cmp_lt_i32_e64 s[0:1], v38, v37
	v_mbcnt_lo_u32_b32 v39, -1, 0
	v_pk_mov_b32 v[22:23], v[20:21], v[20:21] op_sel:[0,1]
	v_pk_mov_b32 v[8:9], v[20:21], v[20:21] op_sel:[0,1]
	v_pk_mov_b32 v[10:11], v[20:21], v[20:21] op_sel:[0,1]
	v_pk_mov_b32 v[12:13], v[20:21], v[20:21] op_sel:[0,1]
	v_pk_mov_b32 v[14:15], v[20:21], v[20:21] op_sel:[0,1]
	v_pk_mov_b32 v[16:17], v[20:21], v[20:21] op_sel:[0,1]
	v_pk_mov_b32 v[18:19], v[20:21], v[20:21] op_sel:[0,1]
	s_cbranch_scc1 .LBB9_28
; %bb.2:
	s_load_dwordx8 s[12:19], s[4:5], 0x28
	s_load_dwordx4 s[36:39], s[4:5], 0x48
	v_and_b32_e32 v2, 63, v34
	v_lshrrev_b32_e32 v44, 4, v2
	v_pk_mov_b32 v[8:9], 0, 0
	s_waitcnt lgkmcnt(0)
	s_mul_i32 s10, s8, s17
	s_mul_hi_u32 s11, s8, s16
	s_mul_i32 s9, s9, s16
	s_add_i32 s10, s11, s10
	s_mul_i32 s8, s8, s16
	s_add_i32 s9, s10, s9
	s_lshl_b64 s[8:9], s[8:9], 4
	s_add_u32 s8, s2, s8
	s_addc_u32 s9, s3, s9
	s_lshl_b64 s[2:3], s[12:13], 4
	s_add_u32 s8, s8, s2
	s_addc_u32 s9, s9, s3
	s_add_u32 s2, s18, s6
	s_addc_u32 s3, s19, s7
	s_load_dwordx2 s[2:3], s[2:3], 0x0
	s_lshl_b64 s[6:7], s[36:37], 4
	v_mov_b32_e32 v3, s9
	s_mov_b32 s42, 0
	v_pk_mov_b32 v[12:13], v[8:9], v[8:9] op_sel:[0,1]
	s_waitcnt lgkmcnt(0)
	s_add_u32 s2, s2, s6
	s_addc_u32 s3, s3, s7
	s_cmpk_lg_i32 s28, 0x6f
	s_cselect_b64 s[16:17], -1, 0
	s_cmpk_eq_i32 s28, 0x6f
	s_cselect_b32 s6, s14, s15
	v_mul_lo_u32 v0, v35, s6
	s_cmpk_lg_i32 s29, 0x6f
	v_ashrrev_i32_e32 v1, 31, v0
	s_cselect_b64 s[18:19], -1, 0
	s_cmpk_eq_i32 s29, 0x6f
	v_lshlrev_b64 v[0:1], 4, v[0:1]
	s_cselect_b32 s6, s39, s38
	v_add_co_u32_e32 v40, vcc, s8, v0
	v_mul_lo_u32 v0, v36, s6
	v_addc_co_u32_e32 v41, vcc, v3, v1, vcc
	v_ashrrev_i32_e32 v1, 31, v0
	v_lshlrev_b64 v[0:1], 4, v[0:1]
	v_mov_b32_e32 v3, s3
	v_add_co_u32_e32 v42, vcc, s2, v0
	v_addc_co_u32_e32 v43, vcc, v3, v1, vcc
	v_and_b32_e32 v1, 15, v34
	v_mul_lo_u32 v0, v1, s14
	s_cmpk_eq_i32 s28, 0x71
	s_cselect_b64 s[10:11], -1, 0
	s_cmpk_eq_i32 s29, 0x71
	v_mad_u64_u32 v[24:25], s[28:29], s15, v44, v[0:1]
	v_mul_lo_u32 v0, s14, v33
	v_mad_u64_u32 v[26:27], s[28:29], v38, s15, v[0:1]
	v_mul_lo_u32 v0, s38, v33
	v_lshl_or_b32 v3, v1, 2, v44
	s_cselect_b64 s[12:13], -1, 0
	s_lshl_b32 s40, s15, 2
	s_lshl_b32 s41, s14, 2
	v_mad_u64_u32 v[28:29], s[14:15], v38, s39, v[0:1]
	v_mbcnt_hi_u32_b32 v0, -1, v39
	v_mul_lo_u32 v2, v1, s38
	v_and_or_b32 v0, v0, 64, v3
	v_cmp_lt_i32_e64 s[2:3], v38, v32
	v_cmp_lt_i32_e64 s[6:7], v1, v32
	;; [unrolled: 1-line block ×3, first 2 shown]
	s_lshl_b32 s38, s38, 2
	v_mad_u64_u32 v[30:31], s[14:15], s39, v44, v[2:3]
	s_lshl_b32 s39, s39, 2
	v_lshlrev_b32_e32 v45, 2, v0
	v_pk_mov_b32 v[16:17], v[8:9], v[8:9] op_sel:[0,1]
	v_pk_mov_b32 v[10:11], v[8:9], v[8:9] op_sel:[0,1]
	;; [unrolled: 1-line block ×6, first 2 shown]
	s_branch .LBB9_6
.LBB9_3:                                ;   in Loop: Header=BB9_6 Depth=1
	s_or_b64 exec, exec, s[28:29]
.LBB9_4:                                ;   in Loop: Header=BB9_6 Depth=1
	s_or_b64 exec, exec, s[14:15]
	s_waitcnt vmcnt(0)
	ds_bpermute_b32 v4, v45, v4
	ds_bpermute_b32 v5, v45, v5
	;; [unrolled: 1-line block ×4, first 2 shown]
.LBB9_5:                                ;   in Loop: Header=BB9_6 Depth=1
	s_waitcnt vmcnt(0) lgkmcnt(0)
	v_xor_b32_e32 v25, 0x80000000, v3
	v_cndmask_b32_e64 v3, v3, v25, s[10:11]
	v_cndmask_b32_e64 v2, v2, v2, s[10:11]
	v_xor_b32_e32 v25, 0x80000000, v7
	v_cndmask_b32_e64 v7, v7, v25, s[12:13]
	v_cndmask_b32_e64 v6, v6, v6, s[12:13]
	v_mfma_f64_16x16x4f64 v[46:53], v[0:1], v[4:5], 0
	s_add_i32 s42, s42, 4
	s_cmp_ge_i32 s42, s33
	v_add_u32_e32 v24, s40, v24
	v_add_u32_e32 v26, s41, v26
	;; [unrolled: 1-line block ×4, first 2 shown]
	v_mfma_f64_16x16x4f64 v[54:61], v[2:3], v[6:7], 0
	s_nop 7
	s_nop 2
	v_add_f64 v[60:61], v[52:53], -v[60:61]
	v_add_f64 v[58:59], v[50:51], -v[58:59]
	;; [unrolled: 1-line block ×4, first 2 shown]
	v_add_f64 v[20:21], v[20:21], v[54:55]
	v_add_f64 v[18:19], v[18:19], v[56:57]
	;; [unrolled: 1-line block ×4, first 2 shown]
	v_mfma_f64_16x16x4f64 v[46:53], v[0:1], v[6:7], 0
	v_mfma_f64_16x16x4f64 v[0:7], v[2:3], v[4:5], 0
	s_nop 7
	s_nop 2
	v_add_f64 v[6:7], v[52:53], v[6:7]
	v_add_f64 v[4:5], v[50:51], v[4:5]
	;; [unrolled: 1-line block ×8, first 2 shown]
	s_cbranch_scc1 .LBB9_28
.LBB9_6:                                ; =>This Inner Loop Header: Depth=1
	s_and_b64 vcc, exec, s[16:17]
	s_cbranch_vccz .LBB9_18
; %bb.7:                                ;   in Loop: Header=BB9_6 Depth=1
	v_pk_mov_b32 v[0:1], 0, 0
	s_mov_b64 s[14:15], 0
	v_pk_mov_b32 v[2:3], v[0:1], v[0:1] op_sel:[0,1]
	s_and_saveexec_b64 s[28:29], s[2:3]
	s_cbranch_execz .LBB9_11
; %bb.8:                                ;   in Loop: Header=BB9_6 Depth=1
	v_add_u32_e32 v0, s42, v33
	v_pk_mov_b32 v[2:3], 0, 0
	v_cmp_gt_i32_e32 vcc, s33, v0
	v_pk_mov_b32 v[0:1], v[2:3], v[2:3] op_sel:[0,1]
	s_and_saveexec_b64 s[36:37], vcc
	s_cbranch_execz .LBB9_10
; %bb.9:                                ;   in Loop: Header=BB9_6 Depth=1
	v_ashrrev_i32_e32 v27, 31, v26
	v_lshlrev_b64 v[0:1], 4, v[26:27]
	v_add_co_u32_e32 v0, vcc, v40, v0
	v_addc_co_u32_e32 v1, vcc, v41, v1, vcc
	global_load_dwordx4 v[0:3], v[0:1], off
.LBB9_10:                               ;   in Loop: Header=BB9_6 Depth=1
	s_or_b64 exec, exec, s[36:37]
.LBB9_11:                               ;   in Loop: Header=BB9_6 Depth=1
	s_or_b64 exec, exec, s[28:29]
	s_waitcnt vmcnt(0)
	ds_bpermute_b32 v0, v45, v0
	ds_bpermute_b32 v1, v45, v1
	;; [unrolled: 1-line block ×4, first 2 shown]
	s_and_b64 vcc, exec, s[14:15]
	s_cbranch_vccnz .LBB9_19
.LBB9_12:                               ;   in Loop: Header=BB9_6 Depth=1
	s_and_b64 vcc, exec, s[18:19]
	s_cbranch_vccz .LBB9_24
.LBB9_13:                               ;   in Loop: Header=BB9_6 Depth=1
	v_pk_mov_b32 v[6:7], 0, 0
	s_mov_b64 s[14:15], 0
	v_pk_mov_b32 v[4:5], v[6:7], v[6:7] op_sel:[0,1]
	s_and_saveexec_b64 s[28:29], s[8:9]
	s_cbranch_execz .LBB9_17
; %bb.14:                               ;   in Loop: Header=BB9_6 Depth=1
	v_add_u32_e32 v4, s42, v44
	v_pk_mov_b32 v[6:7], 0, 0
	v_cmp_gt_i32_e32 vcc, s33, v4
	v_pk_mov_b32 v[4:5], v[6:7], v[6:7] op_sel:[0,1]
	s_and_saveexec_b64 s[36:37], vcc
	s_cbranch_execz .LBB9_16
; %bb.15:                               ;   in Loop: Header=BB9_6 Depth=1
	v_ashrrev_i32_e32 v31, 31, v30
	v_lshlrev_b64 v[4:5], 4, v[30:31]
	v_add_co_u32_e32 v4, vcc, v42, v4
	v_addc_co_u32_e32 v5, vcc, v43, v5, vcc
	global_load_dwordx4 v[4:7], v[4:5], off
.LBB9_16:                               ;   in Loop: Header=BB9_6 Depth=1
	s_or_b64 exec, exec, s[36:37]
.LBB9_17:                               ;   in Loop: Header=BB9_6 Depth=1
	s_or_b64 exec, exec, s[28:29]
	s_andn2_b64 vcc, exec, s[14:15]
	s_cbranch_vccnz .LBB9_5
	s_branch .LBB9_25
.LBB9_18:                               ;   in Loop: Header=BB9_6 Depth=1
                                        ; implicit-def: $vgpr2_vgpr3
	s_cbranch_execz .LBB9_12
.LBB9_19:                               ;   in Loop: Header=BB9_6 Depth=1
	s_waitcnt lgkmcnt(0)
	v_pk_mov_b32 v[2:3], 0, 0
	v_pk_mov_b32 v[0:1], v[2:3], v[2:3] op_sel:[0,1]
	s_and_saveexec_b64 s[14:15], s[6:7]
	s_cbranch_execz .LBB9_23
; %bb.20:                               ;   in Loop: Header=BB9_6 Depth=1
	v_add_u32_e32 v0, s42, v44
	v_pk_mov_b32 v[2:3], 0, 0
	v_cmp_gt_i32_e32 vcc, s33, v0
	v_pk_mov_b32 v[0:1], v[2:3], v[2:3] op_sel:[0,1]
	s_and_saveexec_b64 s[28:29], vcc
	s_cbranch_execz .LBB9_22
; %bb.21:                               ;   in Loop: Header=BB9_6 Depth=1
	v_ashrrev_i32_e32 v25, 31, v24
	v_lshlrev_b64 v[0:1], 4, v[24:25]
	v_add_co_u32_e32 v0, vcc, v40, v0
	v_addc_co_u32_e32 v1, vcc, v41, v1, vcc
	global_load_dwordx4 v[0:3], v[0:1], off
.LBB9_22:                               ;   in Loop: Header=BB9_6 Depth=1
	s_or_b64 exec, exec, s[28:29]
.LBB9_23:                               ;   in Loop: Header=BB9_6 Depth=1
	s_or_b64 exec, exec, s[14:15]
	s_and_b64 vcc, exec, s[18:19]
	s_cbranch_vccnz .LBB9_13
.LBB9_24:                               ;   in Loop: Header=BB9_6 Depth=1
                                        ; implicit-def: $vgpr6_vgpr7
.LBB9_25:                               ;   in Loop: Header=BB9_6 Depth=1
	s_waitcnt vmcnt(0)
	v_pk_mov_b32 v[4:5], 0, 0
	v_pk_mov_b32 v[6:7], v[4:5], v[4:5] op_sel:[0,1]
	s_and_saveexec_b64 s[14:15], s[0:1]
	s_cbranch_execz .LBB9_4
; %bb.26:                               ;   in Loop: Header=BB9_6 Depth=1
	v_add_u32_e32 v4, s42, v33
	v_pk_mov_b32 v[6:7], 0, 0
	v_cmp_gt_i32_e32 vcc, s33, v4
	v_pk_mov_b32 v[4:5], v[6:7], v[6:7] op_sel:[0,1]
	s_and_saveexec_b64 s[28:29], vcc
	s_cbranch_execz .LBB9_3
; %bb.27:                               ;   in Loop: Header=BB9_6 Depth=1
	v_ashrrev_i32_e32 v29, 31, v28
	v_lshlrev_b64 v[4:5], 4, v[28:29]
	v_add_co_u32_e32 v4, vcc, v42, v4
	v_addc_co_u32_e32 v5, vcc, v43, v5, vcc
	global_load_dwordx4 v[4:7], v[4:5], off
	s_branch .LBB9_3
.LBB9_28:
	s_load_dwordx2 s[2:3], s[4:5], 0x78
	s_lshl_b64 s[0:1], s[34:35], 4
	s_waitcnt lgkmcnt(0)
	s_add_u32 s4, s30, s0
	s_addc_u32 s5, s31, s1
	v_mul_lo_u32 v0, v35, s2
	v_mad_u64_u32 v[0:1], s[0:1], v36, s3, v[0:1]
	v_ashrrev_i32_e32 v1, 31, v0
	v_lshlrev_b64 v[2:3], 4, v[0:1]
	v_mov_b32_e32 v0, s5
	v_add_co_u32_e32 v1, vcc, s4, v2
	v_addc_co_u32_e32 v6, vcc, v0, v3, vcc
	v_lshlrev_b32_e32 v0, 4, v34
	v_mbcnt_hi_u32_b32 v2, -1, v39
	v_and_b32_e32 v0, 48, v0
	v_and_b32_e32 v2, 64, v2
	v_or3_b32 v0, v0, v2, v38
	v_lshlrev_b32_e32 v7, 2, v0
	ds_bpermute_b32 v2, v7, v20
	ds_bpermute_b32 v3, v7, v21
	;; [unrolled: 1-line block ×4, first 2 shown]
	v_cmp_lt_i32_e32 vcc, v38, v37
	v_cmp_lt_i32_e64 s[0:1], v33, v32
	v_mul_lo_u32 v0, v38, s3
	s_and_b64 s[0:1], vcc, s[0:1]
	s_and_saveexec_b64 s[4:5], s[0:1]
	s_cbranch_execz .LBB9_30
; %bb.29:
	v_mad_u64_u32 v[20:21], s[0:1], v33, s2, v[0:1]
	v_ashrrev_i32_e32 v21, 31, v20
	v_lshlrev_b64 v[20:21], 4, v[20:21]
	v_add_co_u32_e64 v24, s[0:1], v1, v20
	v_addc_co_u32_e64 v25, s[0:1], v6, v21, s[0:1]
	global_load_dwordx4 v[20:23], v[24:25], off
	s_waitcnt lgkmcnt(0)
	v_mul_f64 v[26:27], s[26:27], v[4:5]
	v_mul_f64 v[4:5], s[24:25], v[4:5]
	v_fma_f64 v[26:27], s[24:25], v[2:3], -v[26:27]
	v_fmac_f64_e32 v[4:5], s[26:27], v[2:3]
	s_waitcnt vmcnt(0)
	v_mul_f64 v[2:3], s[22:23], v[22:23]
	v_mul_f64 v[22:23], s[20:21], v[22:23]
	v_fma_f64 v[2:3], s[20:21], v[20:21], -v[2:3]
	v_fmac_f64_e32 v[22:23], s[22:23], v[20:21]
	v_add_f64 v[2:3], v[26:27], v[2:3]
	v_add_f64 v[4:5], v[4:5], v[22:23]
	global_store_dwordx4 v[24:25], v[2:5], off
.LBB9_30:
	s_or_b64 exec, exec, s[4:5]
	s_waitcnt lgkmcnt(3)
	ds_bpermute_b32 v2, v7, v18
	s_waitcnt lgkmcnt(3)
	ds_bpermute_b32 v3, v7, v19
	s_waitcnt lgkmcnt(3)
	ds_bpermute_b32 v4, v7, v16
	s_waitcnt lgkmcnt(3)
	ds_bpermute_b32 v5, v7, v17
	v_or_b32_e32 v16, 4, v33
	v_cmp_lt_i32_e64 s[0:1], v16, v32
	s_and_b64 s[0:1], vcc, s[0:1]
	s_and_saveexec_b64 s[4:5], s[0:1]
	s_cbranch_execz .LBB9_32
; %bb.31:
	v_mad_u64_u32 v[16:17], s[0:1], v16, s2, v[0:1]
	v_ashrrev_i32_e32 v17, 31, v16
	v_lshlrev_b64 v[16:17], 4, v[16:17]
	v_add_co_u32_e64 v20, s[0:1], v1, v16
	v_addc_co_u32_e64 v21, s[0:1], v6, v17, s[0:1]
	global_load_dwordx4 v[16:19], v[20:21], off
	s_waitcnt lgkmcnt(0)
	v_mul_f64 v[22:23], s[26:27], v[4:5]
	v_mul_f64 v[4:5], s[24:25], v[4:5]
	v_fma_f64 v[22:23], s[24:25], v[2:3], -v[22:23]
	v_fmac_f64_e32 v[4:5], s[26:27], v[2:3]
	s_waitcnt vmcnt(0)
	v_mul_f64 v[2:3], s[22:23], v[18:19]
	v_mul_f64 v[18:19], s[20:21], v[18:19]
	v_fma_f64 v[2:3], s[20:21], v[16:17], -v[2:3]
	v_fmac_f64_e32 v[18:19], s[22:23], v[16:17]
	v_add_f64 v[2:3], v[22:23], v[2:3]
	v_add_f64 v[4:5], v[4:5], v[18:19]
	global_store_dwordx4 v[20:21], v[2:5], off
.LBB9_32:
	s_or_b64 exec, exec, s[4:5]
	s_waitcnt lgkmcnt(3)
	ds_bpermute_b32 v2, v7, v14
	s_waitcnt lgkmcnt(3)
	ds_bpermute_b32 v3, v7, v15
	s_waitcnt lgkmcnt(3)
	ds_bpermute_b32 v4, v7, v12
	s_waitcnt lgkmcnt(3)
	ds_bpermute_b32 v5, v7, v13
	v_or_b32_e32 v12, 8, v33
	v_cmp_lt_i32_e64 s[0:1], v12, v32
	s_and_b64 s[0:1], vcc, s[0:1]
	s_and_saveexec_b64 s[4:5], s[0:1]
	s_cbranch_execz .LBB9_34
; %bb.33:
	v_mad_u64_u32 v[12:13], s[0:1], v12, s2, v[0:1]
	v_ashrrev_i32_e32 v13, 31, v12
	v_lshlrev_b64 v[12:13], 4, v[12:13]
	v_add_co_u32_e64 v16, s[0:1], v1, v12
	v_addc_co_u32_e64 v17, s[0:1], v6, v13, s[0:1]
	global_load_dwordx4 v[12:15], v[16:17], off
	s_waitcnt lgkmcnt(0)
	v_mul_f64 v[18:19], s[26:27], v[4:5]
	v_mul_f64 v[4:5], s[24:25], v[4:5]
	v_fma_f64 v[18:19], s[24:25], v[2:3], -v[18:19]
	v_fmac_f64_e32 v[4:5], s[26:27], v[2:3]
	s_waitcnt vmcnt(0)
	v_mul_f64 v[2:3], s[22:23], v[14:15]
	v_mul_f64 v[14:15], s[20:21], v[14:15]
	v_fma_f64 v[2:3], s[20:21], v[12:13], -v[2:3]
	v_fmac_f64_e32 v[14:15], s[22:23], v[12:13]
	v_add_f64 v[2:3], v[18:19], v[2:3]
	v_add_f64 v[4:5], v[4:5], v[14:15]
	global_store_dwordx4 v[16:17], v[2:5], off
.LBB9_34:
	s_or_b64 exec, exec, s[4:5]
	s_waitcnt lgkmcnt(3)
	ds_bpermute_b32 v2, v7, v10
	s_waitcnt lgkmcnt(3)
	ds_bpermute_b32 v3, v7, v11
	s_waitcnt lgkmcnt(3)
	ds_bpermute_b32 v4, v7, v8
	s_waitcnt lgkmcnt(3)
	ds_bpermute_b32 v5, v7, v9
	v_or_b32_e32 v7, 12, v33
	v_cmp_lt_i32_e64 s[0:1], v7, v32
	s_and_b64 s[0:1], vcc, s[0:1]
	s_and_b64 exec, exec, s[0:1]
	s_cbranch_execz .LBB9_36
; %bb.35:
	v_mad_u64_u32 v[8:9], s[0:1], v7, s2, v[0:1]
	v_ashrrev_i32_e32 v9, 31, v8
	v_lshlrev_b64 v[8:9], 4, v[8:9]
	v_add_co_u32_e32 v10, vcc, v1, v8
	v_addc_co_u32_e32 v11, vcc, v6, v9, vcc
	global_load_dwordx4 v[6:9], v[10:11], off
	s_waitcnt lgkmcnt(0)
	v_mul_f64 v[0:1], s[26:27], v[4:5]
	v_mul_f64 v[4:5], s[24:25], v[4:5]
	v_fma_f64 v[0:1], s[24:25], v[2:3], -v[0:1]
	v_fmac_f64_e32 v[4:5], s[26:27], v[2:3]
	s_waitcnt vmcnt(0)
	v_mul_f64 v[2:3], s[22:23], v[8:9]
	v_mul_f64 v[8:9], s[20:21], v[8:9]
	v_fma_f64 v[2:3], s[20:21], v[6:7], -v[2:3]
	v_fmac_f64_e32 v[8:9], s[22:23], v[6:7]
	v_add_f64 v[0:1], v[0:1], v[2:3]
	v_add_f64 v[2:3], v[4:5], v[8:9]
	global_store_dwordx4 v[10:11], v[0:3], off
.LBB9_36:
	s_endpgm
	.section	.rodata,"a",@progbits
	.p2align	6, 0x0
	.amdhsa_kernel _ZN9rocsolver6v33100L16mfma_gemm_kernelI19rocblas_complex_numIdEiPKS3_PS3_PKS6_S8_EEv18rocblas_operation_S9_T0_SA_SA_T1_T2_lSA_SA_lT3_lSA_SA_lSB_T4_lSA_SA_l
		.amdhsa_group_segment_fixed_size 0
		.amdhsa_private_segment_fixed_size 0
		.amdhsa_kernarg_size 392
		.amdhsa_user_sgpr_count 6
		.amdhsa_user_sgpr_private_segment_buffer 1
		.amdhsa_user_sgpr_dispatch_ptr 0
		.amdhsa_user_sgpr_queue_ptr 0
		.amdhsa_user_sgpr_kernarg_segment_ptr 1
		.amdhsa_user_sgpr_dispatch_id 0
		.amdhsa_user_sgpr_flat_scratch_init 0
		.amdhsa_user_sgpr_kernarg_preload_length 0
		.amdhsa_user_sgpr_kernarg_preload_offset 0
		.amdhsa_user_sgpr_private_segment_size 0
		.amdhsa_uses_dynamic_stack 0
		.amdhsa_system_sgpr_private_segment_wavefront_offset 0
		.amdhsa_system_sgpr_workgroup_id_x 1
		.amdhsa_system_sgpr_workgroup_id_y 1
		.amdhsa_system_sgpr_workgroup_id_z 1
		.amdhsa_system_sgpr_workgroup_info 0
		.amdhsa_system_vgpr_workitem_id 1
		.amdhsa_next_free_vgpr 62
		.amdhsa_next_free_sgpr 43
		.amdhsa_accum_offset 64
		.amdhsa_reserve_vcc 1
		.amdhsa_reserve_flat_scratch 0
		.amdhsa_float_round_mode_32 0
		.amdhsa_float_round_mode_16_64 0
		.amdhsa_float_denorm_mode_32 3
		.amdhsa_float_denorm_mode_16_64 3
		.amdhsa_dx10_clamp 1
		.amdhsa_ieee_mode 1
		.amdhsa_fp16_overflow 0
		.amdhsa_tg_split 0
		.amdhsa_exception_fp_ieee_invalid_op 0
		.amdhsa_exception_fp_denorm_src 0
		.amdhsa_exception_fp_ieee_div_zero 0
		.amdhsa_exception_fp_ieee_overflow 0
		.amdhsa_exception_fp_ieee_underflow 0
		.amdhsa_exception_fp_ieee_inexact 0
		.amdhsa_exception_int_div_zero 0
	.end_amdhsa_kernel
	.section	.text._ZN9rocsolver6v33100L16mfma_gemm_kernelI19rocblas_complex_numIdEiPKS3_PS3_PKS6_S8_EEv18rocblas_operation_S9_T0_SA_SA_T1_T2_lSA_SA_lT3_lSA_SA_lSB_T4_lSA_SA_l,"axG",@progbits,_ZN9rocsolver6v33100L16mfma_gemm_kernelI19rocblas_complex_numIdEiPKS3_PS3_PKS6_S8_EEv18rocblas_operation_S9_T0_SA_SA_T1_T2_lSA_SA_lT3_lSA_SA_lSB_T4_lSA_SA_l,comdat
.Lfunc_end9:
	.size	_ZN9rocsolver6v33100L16mfma_gemm_kernelI19rocblas_complex_numIdEiPKS3_PS3_PKS6_S8_EEv18rocblas_operation_S9_T0_SA_SA_T1_T2_lSA_SA_lT3_lSA_SA_lSB_T4_lSA_SA_l, .Lfunc_end9-_ZN9rocsolver6v33100L16mfma_gemm_kernelI19rocblas_complex_numIdEiPKS3_PS3_PKS6_S8_EEv18rocblas_operation_S9_T0_SA_SA_T1_T2_lSA_SA_lT3_lSA_SA_lSB_T4_lSA_SA_l
                                        ; -- End function
	.section	.AMDGPU.csdata,"",@progbits
; Kernel info:
; codeLenInByte = 2452
; NumSgprs: 47
; NumVgprs: 62
; NumAgprs: 0
; TotalNumVgprs: 62
; ScratchSize: 0
; MemoryBound: 1
; FloatMode: 240
; IeeeMode: 1
; LDSByteSize: 0 bytes/workgroup (compile time only)
; SGPRBlocks: 5
; VGPRBlocks: 7
; NumSGPRsForWavesPerEU: 47
; NumVGPRsForWavesPerEU: 62
; AccumOffset: 64
; Occupancy: 8
; WaveLimiterHint : 1
; COMPUTE_PGM_RSRC2:SCRATCH_EN: 0
; COMPUTE_PGM_RSRC2:USER_SGPR: 6
; COMPUTE_PGM_RSRC2:TRAP_HANDLER: 0
; COMPUTE_PGM_RSRC2:TGID_X_EN: 1
; COMPUTE_PGM_RSRC2:TGID_Y_EN: 1
; COMPUTE_PGM_RSRC2:TGID_Z_EN: 1
; COMPUTE_PGM_RSRC2:TIDIG_COMP_CNT: 1
; COMPUTE_PGM_RSRC3_GFX90A:ACCUM_OFFSET: 15
; COMPUTE_PGM_RSRC3_GFX90A:TG_SPLIT: 0
	.section	.text._ZN9rocsolver6v33100L16mfma_gemm_kernelI19rocblas_complex_numIdEiS3_PS3_PKS4_S6_EEv18rocblas_operation_S7_T0_S8_S8_T1_T2_lS8_S8_lT3_lS8_S8_lS9_T4_lS8_S8_l,"axG",@progbits,_ZN9rocsolver6v33100L16mfma_gemm_kernelI19rocblas_complex_numIdEiS3_PS3_PKS4_S6_EEv18rocblas_operation_S7_T0_S8_S8_T1_T2_lS8_S8_lT3_lS8_S8_lS9_T4_lS8_S8_l,comdat
	.globl	_ZN9rocsolver6v33100L16mfma_gemm_kernelI19rocblas_complex_numIdEiS3_PS3_PKS4_S6_EEv18rocblas_operation_S7_T0_S8_S8_T1_T2_lS8_S8_lT3_lS8_S8_lS9_T4_lS8_S8_l ; -- Begin function _ZN9rocsolver6v33100L16mfma_gemm_kernelI19rocblas_complex_numIdEiS3_PS3_PKS4_S6_EEv18rocblas_operation_S7_T0_S8_S8_T1_T2_lS8_S8_lT3_lS8_S8_lS9_T4_lS8_S8_l
	.p2align	8
	.type	_ZN9rocsolver6v33100L16mfma_gemm_kernelI19rocblas_complex_numIdEiS3_PS3_PKS4_S6_EEv18rocblas_operation_S7_T0_S8_S8_T1_T2_lS8_S8_lT3_lS8_S8_lS9_T4_lS8_S8_l,@function
_ZN9rocsolver6v33100L16mfma_gemm_kernelI19rocblas_complex_numIdEiS3_PS3_PKS4_S6_EEv18rocblas_operation_S7_T0_S8_S8_T1_T2_lS8_S8_lT3_lS8_S8_lS9_T4_lS8_S8_l: ; @_ZN9rocsolver6v33100L16mfma_gemm_kernelI19rocblas_complex_numIdEiS3_PS3_PKS4_S6_EEv18rocblas_operation_S7_T0_S8_S8_T1_T2_lS8_S8_lT3_lS8_S8_lS9_T4_lS8_S8_l
; %bb.0:
	s_load_dword s0, s[4:5], 0xa4
	s_load_dwordx4 s[12:15], s[4:5], 0x0
	v_and_b32_e32 v34, 0x3ff, v0
	v_bfe_u32 v0, v0, 10, 10
	v_lshrrev_b32_e32 v1, 6, v34
	s_waitcnt lgkmcnt(0)
	s_lshr_b32 s1, s0, 16
	s_bfe_u32 s0, s0, 0xa0006
	s_mul_i32 s7, s7, s1
	s_mul_i32 s6, s6, s0
	v_add_u32_e32 v0, s7, v0
	v_add_lshl_u32 v36, s6, v1, 4
	v_lshlrev_b32_e32 v37, 4, v0
	v_cmp_gt_i32_e32 vcc, s14, v36
	v_cmp_gt_i32_e64 s[0:1], s15, v37
	s_and_b64 s[0:1], vcc, s[0:1]
	s_and_saveexec_b64 s[2:3], s[0:1]
	s_cbranch_execz .LBB10_36
; %bb.1:
	s_ashr_i32 s0, s14, 31
	s_lshr_b32 s0, s0, 28
	s_add_i32 s0, s14, s0
	s_and_b32 s0, s0, -16
	s_sub_i32 s0, s14, s0
	s_load_dword s33, s[4:5], 0x10
	s_load_dwordx8 s[24:31], s[4:5], 0x18
	s_load_dwordx8 s[16:23], s[4:5], 0x68
	v_mov_b32_e32 v1, s0
	s_ashr_i32 s0, s15, 31
	s_lshr_b32 s0, s0, 28
	s_add_i32 s0, s15, s0
	v_add_u32_e32 v0, 16, v36
	s_and_b32 s0, s0, -16
	s_ashr_i32 s9, s8, 31
	v_cmp_lt_i32_e32 vcc, s14, v0
	s_sub_i32 s0, s15, s0
	s_lshl_b64 s[2:3], s[8:9], 3
	v_cndmask_b32_e32 v32, 16, v1, vcc
	v_mov_b32_e32 v1, s0
	s_waitcnt lgkmcnt(0)
	s_add_u32 s0, s20, s2
	v_add_u32_e32 v0, 16, v37
	s_addc_u32 s1, s21, s3
	v_cmp_lt_i32_e32 vcc, s15, v0
	s_load_dwordx2 s[14:15], s[0:1], 0x0
	v_cndmask_b32_e32 v35, 16, v1, vcc
	v_bfe_u32 v38, v34, 2, 4
	v_pk_mov_b32 v[20:21], 0, 0
	v_and_b32_e32 v33, 3, v34
	s_cmp_lt_i32 s33, 1
	v_cmp_lt_i32_e64 s[0:1], v38, v35
	v_mbcnt_lo_u32_b32 v39, -1, 0
	v_pk_mov_b32 v[22:23], v[20:21], v[20:21] op_sel:[0,1]
	v_pk_mov_b32 v[8:9], v[20:21], v[20:21] op_sel:[0,1]
	;; [unrolled: 1-line block ×7, first 2 shown]
	s_cbranch_scc1 .LBB10_28
; %bb.2:
	s_load_dwordx8 s[36:43], s[4:5], 0x40
	v_and_b32_e32 v2, 63, v34
	v_lshrrev_b32_e32 v44, 4, v2
	v_pk_mov_b32 v[8:9], 0, 0
	v_pk_mov_b32 v[12:13], v[8:9], v[8:9] op_sel:[0,1]
	s_waitcnt lgkmcnt(0)
	s_mul_i32 s7, s8, s37
	s_mul_hi_u32 s10, s8, s36
	s_mul_i32 s9, s9, s36
	s_add_i32 s7, s10, s7
	s_mul_i32 s6, s8, s36
	s_add_i32 s7, s7, s9
	s_lshl_b64 s[6:7], s[6:7], 4
	s_add_u32 s8, s28, s6
	s_addc_u32 s9, s29, s7
	s_lshl_b64 s[6:7], s[30:31], 4
	s_add_u32 s8, s8, s6
	s_addc_u32 s9, s9, s7
	s_add_u32 s2, s38, s2
	s_addc_u32 s3, s39, s3
	s_load_dwordx2 s[2:3], s[2:3], 0x0
	s_lshl_b64 s[6:7], s[40:41], 4
	s_load_dwordx2 s[30:31], s[4:5], 0x38
	v_mov_b32_e32 v3, s9
	v_pk_mov_b32 v[16:17], v[8:9], v[8:9] op_sel:[0,1]
	s_waitcnt lgkmcnt(0)
	s_add_u32 s2, s2, s6
	s_addc_u32 s3, s3, s7
	s_cmpk_lg_i32 s12, 0x6f
	s_cselect_b64 s[20:21], -1, 0
	s_cmpk_eq_i32 s12, 0x6f
	s_cselect_b32 s6, s30, s31
	v_mul_lo_u32 v0, v36, s6
	s_cmpk_lg_i32 s13, 0x6f
	v_ashrrev_i32_e32 v1, 31, v0
	s_cselect_b64 s[28:29], -1, 0
	s_cmpk_eq_i32 s13, 0x6f
	v_lshlrev_b64 v[0:1], 4, v[0:1]
	s_cselect_b32 s6, s43, s42
	v_add_co_u32_e32 v40, vcc, s8, v0
	v_mul_lo_u32 v0, v37, s6
	v_addc_co_u32_e32 v41, vcc, v3, v1, vcc
	v_ashrrev_i32_e32 v1, 31, v0
	v_lshlrev_b64 v[0:1], 4, v[0:1]
	v_mov_b32_e32 v3, s3
	v_add_co_u32_e32 v42, vcc, s2, v0
	v_addc_co_u32_e32 v43, vcc, v3, v1, vcc
	v_and_b32_e32 v1, 15, v34
	v_mul_lo_u32 v0, v1, s30
	s_cmpk_eq_i32 s12, 0x71
	v_mad_u64_u32 v[24:25], s[34:35], s31, v44, v[0:1]
	v_mul_lo_u32 v0, s30, v33
	s_cselect_b64 s[10:11], -1, 0
	s_cmpk_eq_i32 s13, 0x71
	v_mad_u64_u32 v[26:27], s[34:35], v38, s31, v[0:1]
	v_mul_lo_u32 v0, s42, v33
	v_lshl_or_b32 v3, v1, 2, v44
	s_cselect_b64 s[12:13], -1, 0
	s_lshl_b32 s38, s31, 2
	s_lshl_b32 s39, s30, 2
	v_mad_u64_u32 v[28:29], s[30:31], v38, s43, v[0:1]
	v_mbcnt_hi_u32_b32 v0, -1, v39
	v_mul_lo_u32 v2, v1, s42
	v_and_or_b32 v0, v0, 64, v3
	v_cmp_lt_i32_e64 s[2:3], v38, v32
	v_cmp_lt_i32_e64 s[6:7], v1, v32
	;; [unrolled: 1-line block ×3, first 2 shown]
	s_lshl_b32 s40, s42, 2
	v_mad_u64_u32 v[30:31], s[30:31], s43, v44, v[2:3]
	s_lshl_b32 s41, s43, 2
	s_mov_b32 s42, 0
	v_lshlrev_b32_e32 v45, 2, v0
	v_pk_mov_b32 v[10:11], v[8:9], v[8:9] op_sel:[0,1]
	v_pk_mov_b32 v[14:15], v[8:9], v[8:9] op_sel:[0,1]
	;; [unrolled: 1-line block ×5, first 2 shown]
	s_branch .LBB10_6
.LBB10_3:                               ;   in Loop: Header=BB10_6 Depth=1
	s_or_b64 exec, exec, s[34:35]
.LBB10_4:                               ;   in Loop: Header=BB10_6 Depth=1
	s_or_b64 exec, exec, s[30:31]
	s_waitcnt vmcnt(0)
	ds_bpermute_b32 v4, v45, v4
	ds_bpermute_b32 v5, v45, v5
	;; [unrolled: 1-line block ×4, first 2 shown]
.LBB10_5:                               ;   in Loop: Header=BB10_6 Depth=1
	s_waitcnt vmcnt(0) lgkmcnt(0)
	v_xor_b32_e32 v25, 0x80000000, v3
	v_cndmask_b32_e64 v3, v3, v25, s[10:11]
	v_cndmask_b32_e64 v2, v2, v2, s[10:11]
	v_xor_b32_e32 v25, 0x80000000, v7
	v_cndmask_b32_e64 v7, v7, v25, s[12:13]
	v_cndmask_b32_e64 v6, v6, v6, s[12:13]
	v_mfma_f64_16x16x4f64 v[46:53], v[0:1], v[4:5], 0
	s_add_i32 s42, s42, 4
	s_cmp_ge_i32 s42, s33
	v_add_u32_e32 v24, s38, v24
	v_add_u32_e32 v26, s39, v26
	;; [unrolled: 1-line block ×4, first 2 shown]
	v_mfma_f64_16x16x4f64 v[54:61], v[2:3], v[6:7], 0
	s_nop 7
	s_nop 2
	v_add_f64 v[60:61], v[52:53], -v[60:61]
	v_add_f64 v[58:59], v[50:51], -v[58:59]
	v_add_f64 v[56:57], v[48:49], -v[56:57]
	v_add_f64 v[54:55], v[46:47], -v[54:55]
	v_add_f64 v[20:21], v[20:21], v[54:55]
	v_add_f64 v[18:19], v[18:19], v[56:57]
	;; [unrolled: 1-line block ×4, first 2 shown]
	v_mfma_f64_16x16x4f64 v[46:53], v[0:1], v[6:7], 0
	v_mfma_f64_16x16x4f64 v[0:7], v[2:3], v[4:5], 0
	s_nop 7
	s_nop 2
	v_add_f64 v[6:7], v[52:53], v[6:7]
	v_add_f64 v[4:5], v[50:51], v[4:5]
	;; [unrolled: 1-line block ×8, first 2 shown]
	s_cbranch_scc1 .LBB10_28
.LBB10_6:                               ; =>This Inner Loop Header: Depth=1
	s_and_b64 vcc, exec, s[20:21]
	s_cbranch_vccz .LBB10_18
; %bb.7:                                ;   in Loop: Header=BB10_6 Depth=1
	v_pk_mov_b32 v[0:1], 0, 0
	s_mov_b64 s[30:31], 0
	v_pk_mov_b32 v[2:3], v[0:1], v[0:1] op_sel:[0,1]
	s_and_saveexec_b64 s[34:35], s[2:3]
	s_cbranch_execz .LBB10_11
; %bb.8:                                ;   in Loop: Header=BB10_6 Depth=1
	v_add_u32_e32 v0, s42, v33
	v_pk_mov_b32 v[2:3], 0, 0
	v_cmp_gt_i32_e32 vcc, s33, v0
	v_pk_mov_b32 v[0:1], v[2:3], v[2:3] op_sel:[0,1]
	s_and_saveexec_b64 s[36:37], vcc
	s_cbranch_execz .LBB10_10
; %bb.9:                                ;   in Loop: Header=BB10_6 Depth=1
	v_ashrrev_i32_e32 v27, 31, v26
	v_lshlrev_b64 v[0:1], 4, v[26:27]
	v_add_co_u32_e32 v0, vcc, v40, v0
	v_addc_co_u32_e32 v1, vcc, v41, v1, vcc
	global_load_dwordx4 v[0:3], v[0:1], off
.LBB10_10:                              ;   in Loop: Header=BB10_6 Depth=1
	s_or_b64 exec, exec, s[36:37]
.LBB10_11:                              ;   in Loop: Header=BB10_6 Depth=1
	s_or_b64 exec, exec, s[34:35]
	s_waitcnt vmcnt(0)
	ds_bpermute_b32 v0, v45, v0
	ds_bpermute_b32 v1, v45, v1
	ds_bpermute_b32 v2, v45, v2
	ds_bpermute_b32 v3, v45, v3
	s_and_b64 vcc, exec, s[30:31]
	s_cbranch_vccnz .LBB10_19
.LBB10_12:                              ;   in Loop: Header=BB10_6 Depth=1
	s_and_b64 vcc, exec, s[28:29]
	s_cbranch_vccz .LBB10_24
.LBB10_13:                              ;   in Loop: Header=BB10_6 Depth=1
	v_pk_mov_b32 v[6:7], 0, 0
	s_mov_b64 s[30:31], 0
	v_pk_mov_b32 v[4:5], v[6:7], v[6:7] op_sel:[0,1]
	s_and_saveexec_b64 s[34:35], s[8:9]
	s_cbranch_execz .LBB10_17
; %bb.14:                               ;   in Loop: Header=BB10_6 Depth=1
	v_add_u32_e32 v4, s42, v44
	v_pk_mov_b32 v[6:7], 0, 0
	v_cmp_gt_i32_e32 vcc, s33, v4
	v_pk_mov_b32 v[4:5], v[6:7], v[6:7] op_sel:[0,1]
	s_and_saveexec_b64 s[36:37], vcc
	s_cbranch_execz .LBB10_16
; %bb.15:                               ;   in Loop: Header=BB10_6 Depth=1
	v_ashrrev_i32_e32 v31, 31, v30
	v_lshlrev_b64 v[4:5], 4, v[30:31]
	v_add_co_u32_e32 v4, vcc, v42, v4
	v_addc_co_u32_e32 v5, vcc, v43, v5, vcc
	global_load_dwordx4 v[4:7], v[4:5], off
.LBB10_16:                              ;   in Loop: Header=BB10_6 Depth=1
	s_or_b64 exec, exec, s[36:37]
.LBB10_17:                              ;   in Loop: Header=BB10_6 Depth=1
	s_or_b64 exec, exec, s[34:35]
	s_andn2_b64 vcc, exec, s[30:31]
	s_cbranch_vccnz .LBB10_5
	s_branch .LBB10_25
.LBB10_18:                              ;   in Loop: Header=BB10_6 Depth=1
                                        ; implicit-def: $vgpr2_vgpr3
	s_cbranch_execz .LBB10_12
.LBB10_19:                              ;   in Loop: Header=BB10_6 Depth=1
	s_waitcnt lgkmcnt(0)
	v_pk_mov_b32 v[2:3], 0, 0
	v_pk_mov_b32 v[0:1], v[2:3], v[2:3] op_sel:[0,1]
	s_and_saveexec_b64 s[30:31], s[6:7]
	s_cbranch_execz .LBB10_23
; %bb.20:                               ;   in Loop: Header=BB10_6 Depth=1
	v_add_u32_e32 v0, s42, v44
	v_pk_mov_b32 v[2:3], 0, 0
	v_cmp_gt_i32_e32 vcc, s33, v0
	v_pk_mov_b32 v[0:1], v[2:3], v[2:3] op_sel:[0,1]
	s_and_saveexec_b64 s[34:35], vcc
	s_cbranch_execz .LBB10_22
; %bb.21:                               ;   in Loop: Header=BB10_6 Depth=1
	v_ashrrev_i32_e32 v25, 31, v24
	v_lshlrev_b64 v[0:1], 4, v[24:25]
	v_add_co_u32_e32 v0, vcc, v40, v0
	v_addc_co_u32_e32 v1, vcc, v41, v1, vcc
	global_load_dwordx4 v[0:3], v[0:1], off
.LBB10_22:                              ;   in Loop: Header=BB10_6 Depth=1
	s_or_b64 exec, exec, s[34:35]
.LBB10_23:                              ;   in Loop: Header=BB10_6 Depth=1
	s_or_b64 exec, exec, s[30:31]
	s_and_b64 vcc, exec, s[28:29]
	s_cbranch_vccnz .LBB10_13
.LBB10_24:                              ;   in Loop: Header=BB10_6 Depth=1
                                        ; implicit-def: $vgpr6_vgpr7
.LBB10_25:                              ;   in Loop: Header=BB10_6 Depth=1
	s_waitcnt vmcnt(0)
	v_pk_mov_b32 v[4:5], 0, 0
	v_pk_mov_b32 v[6:7], v[4:5], v[4:5] op_sel:[0,1]
	s_and_saveexec_b64 s[30:31], s[0:1]
	s_cbranch_execz .LBB10_4
; %bb.26:                               ;   in Loop: Header=BB10_6 Depth=1
	v_add_u32_e32 v4, s42, v33
	v_pk_mov_b32 v[6:7], 0, 0
	v_cmp_gt_i32_e32 vcc, s33, v4
	v_pk_mov_b32 v[4:5], v[6:7], v[6:7] op_sel:[0,1]
	s_and_saveexec_b64 s[34:35], vcc
	s_cbranch_execz .LBB10_3
; %bb.27:                               ;   in Loop: Header=BB10_6 Depth=1
	v_ashrrev_i32_e32 v29, 31, v28
	v_lshlrev_b64 v[4:5], 4, v[28:29]
	v_add_co_u32_e32 v4, vcc, v42, v4
	v_addc_co_u32_e32 v5, vcc, v43, v5, vcc
	global_load_dwordx4 v[4:7], v[4:5], off
	s_branch .LBB10_3
.LBB10_28:
	s_load_dwordx2 s[2:3], s[4:5], 0x88
	s_lshl_b64 s[0:1], s[22:23], 4
	s_waitcnt lgkmcnt(0)
	s_add_u32 s4, s14, s0
	s_addc_u32 s5, s15, s1
	v_mul_lo_u32 v0, v36, s2
	v_mad_u64_u32 v[0:1], s[0:1], v37, s3, v[0:1]
	v_ashrrev_i32_e32 v1, 31, v0
	v_lshlrev_b64 v[2:3], 4, v[0:1]
	v_mov_b32_e32 v0, s5
	v_add_co_u32_e32 v1, vcc, s4, v2
	v_addc_co_u32_e32 v6, vcc, v0, v3, vcc
	v_lshlrev_b32_e32 v0, 4, v34
	v_mbcnt_hi_u32_b32 v2, -1, v39
	v_and_b32_e32 v0, 48, v0
	v_and_b32_e32 v2, 64, v2
	v_or3_b32 v0, v0, v2, v38
	v_lshlrev_b32_e32 v7, 2, v0
	ds_bpermute_b32 v2, v7, v20
	ds_bpermute_b32 v3, v7, v21
	ds_bpermute_b32 v4, v7, v22
	ds_bpermute_b32 v5, v7, v23
	v_cmp_lt_i32_e32 vcc, v38, v35
	v_cmp_lt_i32_e64 s[0:1], v33, v32
	v_mul_lo_u32 v0, v38, s3
	s_and_b64 s[0:1], vcc, s[0:1]
	s_and_saveexec_b64 s[4:5], s[0:1]
	s_cbranch_execz .LBB10_30
; %bb.29:
	v_mad_u64_u32 v[20:21], s[0:1], v33, s2, v[0:1]
	v_ashrrev_i32_e32 v21, 31, v20
	v_lshlrev_b64 v[20:21], 4, v[20:21]
	v_add_co_u32_e64 v24, s[0:1], v1, v20
	v_addc_co_u32_e64 v25, s[0:1], v6, v21, s[0:1]
	global_load_dwordx4 v[20:23], v[24:25], off
	s_waitcnt lgkmcnt(0)
	v_mul_f64 v[26:27], s[26:27], v[4:5]
	v_mul_f64 v[4:5], s[24:25], v[4:5]
	v_fma_f64 v[26:27], s[24:25], v[2:3], -v[26:27]
	v_fmac_f64_e32 v[4:5], s[26:27], v[2:3]
	s_waitcnt vmcnt(0)
	v_mul_f64 v[2:3], s[18:19], v[22:23]
	v_mul_f64 v[22:23], s[16:17], v[22:23]
	v_fma_f64 v[2:3], s[16:17], v[20:21], -v[2:3]
	v_fmac_f64_e32 v[22:23], s[18:19], v[20:21]
	v_add_f64 v[2:3], v[26:27], v[2:3]
	v_add_f64 v[4:5], v[4:5], v[22:23]
	global_store_dwordx4 v[24:25], v[2:5], off
.LBB10_30:
	s_or_b64 exec, exec, s[4:5]
	s_waitcnt lgkmcnt(3)
	ds_bpermute_b32 v2, v7, v18
	s_waitcnt lgkmcnt(3)
	ds_bpermute_b32 v3, v7, v19
	s_waitcnt lgkmcnt(3)
	ds_bpermute_b32 v4, v7, v16
	s_waitcnt lgkmcnt(3)
	ds_bpermute_b32 v5, v7, v17
	v_or_b32_e32 v16, 4, v33
	v_cmp_lt_i32_e64 s[0:1], v16, v32
	s_and_b64 s[0:1], vcc, s[0:1]
	s_and_saveexec_b64 s[4:5], s[0:1]
	s_cbranch_execz .LBB10_32
; %bb.31:
	v_mad_u64_u32 v[16:17], s[0:1], v16, s2, v[0:1]
	v_ashrrev_i32_e32 v17, 31, v16
	v_lshlrev_b64 v[16:17], 4, v[16:17]
	v_add_co_u32_e64 v20, s[0:1], v1, v16
	v_addc_co_u32_e64 v21, s[0:1], v6, v17, s[0:1]
	global_load_dwordx4 v[16:19], v[20:21], off
	s_waitcnt lgkmcnt(0)
	v_mul_f64 v[22:23], s[26:27], v[4:5]
	v_mul_f64 v[4:5], s[24:25], v[4:5]
	v_fma_f64 v[22:23], s[24:25], v[2:3], -v[22:23]
	v_fmac_f64_e32 v[4:5], s[26:27], v[2:3]
	s_waitcnt vmcnt(0)
	v_mul_f64 v[2:3], s[18:19], v[18:19]
	v_mul_f64 v[18:19], s[16:17], v[18:19]
	v_fma_f64 v[2:3], s[16:17], v[16:17], -v[2:3]
	v_fmac_f64_e32 v[18:19], s[18:19], v[16:17]
	v_add_f64 v[2:3], v[22:23], v[2:3]
	v_add_f64 v[4:5], v[4:5], v[18:19]
	global_store_dwordx4 v[20:21], v[2:5], off
.LBB10_32:
	s_or_b64 exec, exec, s[4:5]
	s_waitcnt lgkmcnt(3)
	ds_bpermute_b32 v2, v7, v14
	s_waitcnt lgkmcnt(3)
	ds_bpermute_b32 v3, v7, v15
	s_waitcnt lgkmcnt(3)
	ds_bpermute_b32 v4, v7, v12
	s_waitcnt lgkmcnt(3)
	ds_bpermute_b32 v5, v7, v13
	v_or_b32_e32 v12, 8, v33
	v_cmp_lt_i32_e64 s[0:1], v12, v32
	;; [unrolled: 35-line block ×3, first 2 shown]
	s_and_b64 s[0:1], vcc, s[0:1]
	s_and_b64 exec, exec, s[0:1]
	s_cbranch_execz .LBB10_36
; %bb.35:
	v_mad_u64_u32 v[8:9], s[0:1], v7, s2, v[0:1]
	v_ashrrev_i32_e32 v9, 31, v8
	v_lshlrev_b64 v[8:9], 4, v[8:9]
	v_add_co_u32_e32 v10, vcc, v1, v8
	v_addc_co_u32_e32 v11, vcc, v6, v9, vcc
	global_load_dwordx4 v[6:9], v[10:11], off
	s_waitcnt lgkmcnt(0)
	v_mul_f64 v[0:1], s[26:27], v[4:5]
	v_mul_f64 v[4:5], s[24:25], v[4:5]
	v_fma_f64 v[0:1], s[24:25], v[2:3], -v[0:1]
	v_fmac_f64_e32 v[4:5], s[26:27], v[2:3]
	s_waitcnt vmcnt(0)
	v_mul_f64 v[2:3], s[18:19], v[8:9]
	v_mul_f64 v[8:9], s[16:17], v[8:9]
	v_fma_f64 v[2:3], s[16:17], v[6:7], -v[2:3]
	v_fmac_f64_e32 v[8:9], s[18:19], v[6:7]
	v_add_f64 v[0:1], v[0:1], v[2:3]
	v_add_f64 v[2:3], v[4:5], v[8:9]
	global_store_dwordx4 v[10:11], v[0:3], off
.LBB10_36:
	s_endpgm
	.section	.rodata,"a",@progbits
	.p2align	6, 0x0
	.amdhsa_kernel _ZN9rocsolver6v33100L16mfma_gemm_kernelI19rocblas_complex_numIdEiS3_PS3_PKS4_S6_EEv18rocblas_operation_S7_T0_S8_S8_T1_T2_lS8_S8_lT3_lS8_S8_lS9_T4_lS8_S8_l
		.amdhsa_group_segment_fixed_size 0
		.amdhsa_private_segment_fixed_size 0
		.amdhsa_kernarg_size 408
		.amdhsa_user_sgpr_count 6
		.amdhsa_user_sgpr_private_segment_buffer 1
		.amdhsa_user_sgpr_dispatch_ptr 0
		.amdhsa_user_sgpr_queue_ptr 0
		.amdhsa_user_sgpr_kernarg_segment_ptr 1
		.amdhsa_user_sgpr_dispatch_id 0
		.amdhsa_user_sgpr_flat_scratch_init 0
		.amdhsa_user_sgpr_kernarg_preload_length 0
		.amdhsa_user_sgpr_kernarg_preload_offset 0
		.amdhsa_user_sgpr_private_segment_size 0
		.amdhsa_uses_dynamic_stack 0
		.amdhsa_system_sgpr_private_segment_wavefront_offset 0
		.amdhsa_system_sgpr_workgroup_id_x 1
		.amdhsa_system_sgpr_workgroup_id_y 1
		.amdhsa_system_sgpr_workgroup_id_z 1
		.amdhsa_system_sgpr_workgroup_info 0
		.amdhsa_system_vgpr_workitem_id 1
		.amdhsa_next_free_vgpr 62
		.amdhsa_next_free_sgpr 44
		.amdhsa_accum_offset 64
		.amdhsa_reserve_vcc 1
		.amdhsa_reserve_flat_scratch 0
		.amdhsa_float_round_mode_32 0
		.amdhsa_float_round_mode_16_64 0
		.amdhsa_float_denorm_mode_32 3
		.amdhsa_float_denorm_mode_16_64 3
		.amdhsa_dx10_clamp 1
		.amdhsa_ieee_mode 1
		.amdhsa_fp16_overflow 0
		.amdhsa_tg_split 0
		.amdhsa_exception_fp_ieee_invalid_op 0
		.amdhsa_exception_fp_denorm_src 0
		.amdhsa_exception_fp_ieee_div_zero 0
		.amdhsa_exception_fp_ieee_overflow 0
		.amdhsa_exception_fp_ieee_underflow 0
		.amdhsa_exception_fp_ieee_inexact 0
		.amdhsa_exception_int_div_zero 0
	.end_amdhsa_kernel
	.section	.text._ZN9rocsolver6v33100L16mfma_gemm_kernelI19rocblas_complex_numIdEiS3_PS3_PKS4_S6_EEv18rocblas_operation_S7_T0_S8_S8_T1_T2_lS8_S8_lT3_lS8_S8_lS9_T4_lS8_S8_l,"axG",@progbits,_ZN9rocsolver6v33100L16mfma_gemm_kernelI19rocblas_complex_numIdEiS3_PS3_PKS4_S6_EEv18rocblas_operation_S7_T0_S8_S8_T1_T2_lS8_S8_lT3_lS8_S8_lS9_T4_lS8_S8_l,comdat
.Lfunc_end10:
	.size	_ZN9rocsolver6v33100L16mfma_gemm_kernelI19rocblas_complex_numIdEiS3_PS3_PKS4_S6_EEv18rocblas_operation_S7_T0_S8_S8_T1_T2_lS8_S8_lT3_lS8_S8_lS9_T4_lS8_S8_l, .Lfunc_end10-_ZN9rocsolver6v33100L16mfma_gemm_kernelI19rocblas_complex_numIdEiS3_PS3_PKS4_S6_EEv18rocblas_operation_S7_T0_S8_S8_T1_T2_lS8_S8_lT3_lS8_S8_lS9_T4_lS8_S8_l
                                        ; -- End function
	.section	.AMDGPU.csdata,"",@progbits
; Kernel info:
; codeLenInByte = 2428
; NumSgprs: 48
; NumVgprs: 62
; NumAgprs: 0
; TotalNumVgprs: 62
; ScratchSize: 0
; MemoryBound: 1
; FloatMode: 240
; IeeeMode: 1
; LDSByteSize: 0 bytes/workgroup (compile time only)
; SGPRBlocks: 5
; VGPRBlocks: 7
; NumSGPRsForWavesPerEU: 48
; NumVGPRsForWavesPerEU: 62
; AccumOffset: 64
; Occupancy: 8
; WaveLimiterHint : 1
; COMPUTE_PGM_RSRC2:SCRATCH_EN: 0
; COMPUTE_PGM_RSRC2:USER_SGPR: 6
; COMPUTE_PGM_RSRC2:TRAP_HANDLER: 0
; COMPUTE_PGM_RSRC2:TGID_X_EN: 1
; COMPUTE_PGM_RSRC2:TGID_Y_EN: 1
; COMPUTE_PGM_RSRC2:TGID_Z_EN: 1
; COMPUTE_PGM_RSRC2:TIDIG_COMP_CNT: 1
; COMPUTE_PGM_RSRC3_GFX90A:ACCUM_OFFSET: 15
; COMPUTE_PGM_RSRC3_GFX90A:TG_SPLIT: 0
	.section	.text._ZN9rocsolver6v33100L11gemm_kernelI19rocblas_complex_numIdEiPKS3_PS3_PKS6_S8_EEvT0_S9_S9_T1_bT2_lS9_S9_lbT3_lS9_S9_lSA_T4_lS9_S9_l,"axG",@progbits,_ZN9rocsolver6v33100L11gemm_kernelI19rocblas_complex_numIdEiPKS3_PS3_PKS6_S8_EEvT0_S9_S9_T1_bT2_lS9_S9_lbT3_lS9_S9_lSA_T4_lS9_S9_l,comdat
	.globl	_ZN9rocsolver6v33100L11gemm_kernelI19rocblas_complex_numIdEiPKS3_PS3_PKS6_S8_EEvT0_S9_S9_T1_bT2_lS9_S9_lbT3_lS9_S9_lSA_T4_lS9_S9_l ; -- Begin function _ZN9rocsolver6v33100L11gemm_kernelI19rocblas_complex_numIdEiPKS3_PS3_PKS6_S8_EEvT0_S9_S9_T1_bT2_lS9_S9_lbT3_lS9_S9_lSA_T4_lS9_S9_l
	.p2align	8
	.type	_ZN9rocsolver6v33100L11gemm_kernelI19rocblas_complex_numIdEiPKS3_PS3_PKS6_S8_EEvT0_S9_S9_T1_bT2_lS9_S9_lbT3_lS9_S9_lSA_T4_lS9_S9_l,@function
_ZN9rocsolver6v33100L11gemm_kernelI19rocblas_complex_numIdEiPKS3_PS3_PKS6_S8_EEvT0_S9_S9_T1_bT2_lS9_S9_lbT3_lS9_S9_lSA_T4_lS9_S9_l: ; @_ZN9rocsolver6v33100L11gemm_kernelI19rocblas_complex_numIdEiPKS3_PS3_PKS6_S8_EEvT0_S9_S9_T1_bT2_lS9_S9_lbT3_lS9_S9_lSA_T4_lS9_S9_l
; %bb.0:
	s_load_dword s0, s[4:5], 0x9c
	s_load_dwordx4 s[20:23], s[4:5], 0x0
	v_and_b32_e32 v1, 0x3ff, v0
	v_bfe_u32 v0, v0, 10, 10
	s_waitcnt lgkmcnt(0)
	s_lshr_b32 s1, s0, 16
	s_and_b32 s0, s0, 0xffff
	s_mul_i32 s6, s6, s0
	s_mul_i32 s7, s7, s1
	v_add_u32_e32 v8, s6, v1
	v_add_u32_e32 v9, s7, v0
	v_cmp_gt_i32_e32 vcc, s20, v8
	v_cmp_gt_i32_e64 s[0:1], s21, v9
	s_and_b64 s[0:1], vcc, s[0:1]
	s_and_saveexec_b64 s[2:3], s[0:1]
	s_cbranch_execz .LBB11_5
; %bb.1:
	s_load_dwordx4 s[24:27], s[4:5], 0x68
	s_load_dwordx2 s[34:35], s[4:5], 0x10
	s_load_dwordx2 s[6:7], s[4:5], 0x78
	s_ashr_i32 s9, s8, 31
	s_lshl_b64 s[0:1], s[8:9], 3
	s_waitcnt lgkmcnt(0)
	s_add_u32 s2, s26, s0
	s_addc_u32 s3, s27, s1
	s_load_dwordx2 s[20:21], s[2:3], 0x0
	v_pk_mov_b32 v[0:1], 0, 0
	s_cmp_lt_i32 s22, 1
	v_pk_mov_b32 v[2:3], v[0:1], v[0:1] op_sel:[0,1]
	s_cbranch_scc1 .LBB11_4
; %bb.2:
	s_load_dwordx4 s[28:31], s[4:5], 0x48
	s_load_dword s2, s[4:5], 0x40
	s_load_dword s3, s[4:5], 0x18
	s_load_dwordx8 s[12:19], s[4:5], 0x20
	s_load_dwordx2 s[26:27], s[4:5], 0x58
	s_waitcnt lgkmcnt(0)
	s_add_u32 s0, s28, s0
	s_addc_u32 s1, s29, s1
	s_bitcmp1_b32 s3, 0
	s_cselect_b64 vcc, -1, 0
	s_bitcmp1_b32 s2, 0
	s_mul_i32 s2, s18, s9
	s_mul_hi_u32 s3, s18, s8
	s_load_dwordx2 s[10:11], s[0:1], 0x0
	s_cselect_b64 s[0:1], -1, 0
	s_add_i32 s2, s3, s2
	s_mul_i32 s3, s19, s8
	s_add_i32 s3, s2, s3
	s_mul_i32 s2, s18, s8
	s_lshl_b64 s[2:3], s[2:3], 4
	s_lshl_b64 s[8:9], s[14:15], 4
	s_add_u32 s2, s2, s8
	v_mul_lo_u32 v0, v8, s16
	s_addc_u32 s3, s3, s9
	v_ashrrev_i32_e32 v1, 31, v0
	s_add_u32 s2, s12, s2
	v_lshlrev_b64 v[0:1], 4, v[0:1]
	s_addc_u32 s3, s13, s3
	v_mov_b32_e32 v3, s3
	v_add_co_u32_e64 v0, s[2:3], s2, v0
	v_addc_co_u32_e64 v1, s[2:3], v3, v1, s[2:3]
	v_add_co_u32_e64 v4, s[2:3], 8, v0
	v_addc_co_u32_e64 v5, s[2:3], 0, v1, s[2:3]
	s_ashr_i32 s3, s17, 31
	s_mov_b32 s2, s17
	v_mul_lo_u32 v2, v9, s27
	s_lshl_b64 s[8:9], s[2:3], 4
	s_lshl_b64 s[2:3], s[30:31], 4
	v_ashrrev_i32_e32 v3, 31, v2
	s_waitcnt lgkmcnt(0)
	s_add_u32 s2, s10, s2
	v_lshlrev_b64 v[0:1], 4, v[2:3]
	s_addc_u32 s3, s11, s3
	v_mov_b32_e32 v2, s3
	v_add_co_u32_e64 v0, s[2:3], s2, v0
	v_addc_co_u32_e64 v1, s[2:3], v2, v1, s[2:3]
	v_add_co_u32_e64 v6, s[2:3], 8, v0
	s_ashr_i32 s27, s26, 31
	v_addc_co_u32_e64 v7, s[2:3], 0, v1, s[2:3]
	s_lshl_b64 s[10:11], s[26:27], 4
	v_pk_mov_b32 v[0:1], 0, 0
	v_mov_b32_e32 v10, s9
	v_mov_b32_e32 v11, s11
	v_pk_mov_b32 v[2:3], v[0:1], v[0:1] op_sel:[0,1]
.LBB11_3:                               ; =>This Inner Loop Header: Depth=1
	global_load_dwordx4 v[12:15], v[4:5], off offset:-8
	global_load_dwordx4 v[16:19], v[6:7], off offset:-8
	v_add_co_u32_e64 v4, s[2:3], s8, v4
	v_addc_co_u32_e64 v5, s[2:3], v5, v10, s[2:3]
	s_add_i32 s22, s22, -1
	v_add_co_u32_e64 v6, s[2:3], s10, v6
	v_addc_co_u32_e64 v7, s[2:3], v7, v11, s[2:3]
	s_cmp_eq_u32 s22, 0
	s_waitcnt vmcnt(1)
	v_xor_b32_e32 v20, 0x80000000, v15
	s_waitcnt vmcnt(0)
	v_xor_b32_e32 v21, 0x80000000, v19
	v_cndmask_b32_e32 v15, v15, v20, vcc
	v_cndmask_b32_e64 v19, v19, v21, s[0:1]
	v_mul_f64 v[20:21], v[14:15], v[18:19]
	v_mul_f64 v[14:15], v[14:15], v[16:17]
	v_fma_f64 v[16:17], v[12:13], v[16:17], -v[20:21]
	v_fmac_f64_e32 v[14:15], v[12:13], v[18:19]
	v_add_f64 v[2:3], v[2:3], v[16:17]
	v_add_f64 v[0:1], v[0:1], v[14:15]
	s_cbranch_scc0 .LBB11_3
.LBB11_4:
	s_load_dwordx4 s[8:11], s[34:35], 0x0
	s_load_dwordx4 s[0:3], s[24:25], 0x0
                                        ; kill: killed $sgpr34_sgpr35
                                        ; kill: killed $sgpr24_sgpr25
	s_nop 0
	s_load_dwordx2 s[4:5], s[4:5], 0x80
	s_lshl_b64 s[6:7], s[6:7], 4
	s_waitcnt lgkmcnt(0)
	s_add_u32 s6, s20, s6
	s_addc_u32 s7, s21, s7
	v_mov_b32_e32 v6, s7
	v_mul_lo_u32 v4, v8, s4
	v_mad_u64_u32 v[4:5], s[4:5], v9, s5, v[4:5]
	v_ashrrev_i32_e32 v5, 31, v4
	v_lshlrev_b64 v[4:5], 4, v[4:5]
	v_add_co_u32_e32 v8, vcc, s6, v4
	v_addc_co_u32_e32 v9, vcc, v6, v5, vcc
	global_load_dwordx4 v[4:7], v[8:9], off
	v_mul_f64 v[10:11], s[10:11], v[0:1]
	v_mul_f64 v[12:13], s[8:9], v[0:1]
	v_fma_f64 v[0:1], s[8:9], v[2:3], -v[10:11]
	v_fmac_f64_e32 v[12:13], s[10:11], v[2:3]
	s_waitcnt vmcnt(0)
	v_mul_f64 v[2:3], s[2:3], v[6:7]
	v_mul_f64 v[6:7], s[0:1], v[6:7]
	v_fma_f64 v[2:3], s[0:1], v[4:5], -v[2:3]
	v_fmac_f64_e32 v[6:7], s[2:3], v[4:5]
	v_add_f64 v[0:1], v[0:1], v[2:3]
	v_add_f64 v[2:3], v[12:13], v[6:7]
	global_store_dwordx4 v[8:9], v[0:3], off
.LBB11_5:
	s_endpgm
	.section	.rodata,"a",@progbits
	.p2align	6, 0x0
	.amdhsa_kernel _ZN9rocsolver6v33100L11gemm_kernelI19rocblas_complex_numIdEiPKS3_PS3_PKS6_S8_EEvT0_S9_S9_T1_bT2_lS9_S9_lbT3_lS9_S9_lSA_T4_lS9_S9_l
		.amdhsa_group_segment_fixed_size 0
		.amdhsa_private_segment_fixed_size 0
		.amdhsa_kernarg_size 400
		.amdhsa_user_sgpr_count 6
		.amdhsa_user_sgpr_private_segment_buffer 1
		.amdhsa_user_sgpr_dispatch_ptr 0
		.amdhsa_user_sgpr_queue_ptr 0
		.amdhsa_user_sgpr_kernarg_segment_ptr 1
		.amdhsa_user_sgpr_dispatch_id 0
		.amdhsa_user_sgpr_flat_scratch_init 0
		.amdhsa_user_sgpr_kernarg_preload_length 0
		.amdhsa_user_sgpr_kernarg_preload_offset 0
		.amdhsa_user_sgpr_private_segment_size 0
		.amdhsa_uses_dynamic_stack 0
		.amdhsa_system_sgpr_private_segment_wavefront_offset 0
		.amdhsa_system_sgpr_workgroup_id_x 1
		.amdhsa_system_sgpr_workgroup_id_y 1
		.amdhsa_system_sgpr_workgroup_id_z 1
		.amdhsa_system_sgpr_workgroup_info 0
		.amdhsa_system_vgpr_workitem_id 1
		.amdhsa_next_free_vgpr 22
		.amdhsa_next_free_sgpr 36
		.amdhsa_accum_offset 24
		.amdhsa_reserve_vcc 1
		.amdhsa_reserve_flat_scratch 0
		.amdhsa_float_round_mode_32 0
		.amdhsa_float_round_mode_16_64 0
		.amdhsa_float_denorm_mode_32 3
		.amdhsa_float_denorm_mode_16_64 3
		.amdhsa_dx10_clamp 1
		.amdhsa_ieee_mode 1
		.amdhsa_fp16_overflow 0
		.amdhsa_tg_split 0
		.amdhsa_exception_fp_ieee_invalid_op 0
		.amdhsa_exception_fp_denorm_src 0
		.amdhsa_exception_fp_ieee_div_zero 0
		.amdhsa_exception_fp_ieee_overflow 0
		.amdhsa_exception_fp_ieee_underflow 0
		.amdhsa_exception_fp_ieee_inexact 0
		.amdhsa_exception_int_div_zero 0
	.end_amdhsa_kernel
	.section	.text._ZN9rocsolver6v33100L11gemm_kernelI19rocblas_complex_numIdEiPKS3_PS3_PKS6_S8_EEvT0_S9_S9_T1_bT2_lS9_S9_lbT3_lS9_S9_lSA_T4_lS9_S9_l,"axG",@progbits,_ZN9rocsolver6v33100L11gemm_kernelI19rocblas_complex_numIdEiPKS3_PS3_PKS6_S8_EEvT0_S9_S9_T1_bT2_lS9_S9_lbT3_lS9_S9_lSA_T4_lS9_S9_l,comdat
.Lfunc_end11:
	.size	_ZN9rocsolver6v33100L11gemm_kernelI19rocblas_complex_numIdEiPKS3_PS3_PKS6_S8_EEvT0_S9_S9_T1_bT2_lS9_S9_lbT3_lS9_S9_lSA_T4_lS9_S9_l, .Lfunc_end11-_ZN9rocsolver6v33100L11gemm_kernelI19rocblas_complex_numIdEiPKS3_PS3_PKS6_S8_EEvT0_S9_S9_T1_bT2_lS9_S9_lbT3_lS9_S9_lSA_T4_lS9_S9_l
                                        ; -- End function
	.section	.AMDGPU.csdata,"",@progbits
; Kernel info:
; codeLenInByte = 780
; NumSgprs: 40
; NumVgprs: 22
; NumAgprs: 0
; TotalNumVgprs: 22
; ScratchSize: 0
; MemoryBound: 0
; FloatMode: 240
; IeeeMode: 1
; LDSByteSize: 0 bytes/workgroup (compile time only)
; SGPRBlocks: 4
; VGPRBlocks: 2
; NumSGPRsForWavesPerEU: 40
; NumVGPRsForWavesPerEU: 22
; AccumOffset: 24
; Occupancy: 8
; WaveLimiterHint : 1
; COMPUTE_PGM_RSRC2:SCRATCH_EN: 0
; COMPUTE_PGM_RSRC2:USER_SGPR: 6
; COMPUTE_PGM_RSRC2:TRAP_HANDLER: 0
; COMPUTE_PGM_RSRC2:TGID_X_EN: 1
; COMPUTE_PGM_RSRC2:TGID_Y_EN: 1
; COMPUTE_PGM_RSRC2:TGID_Z_EN: 1
; COMPUTE_PGM_RSRC2:TIDIG_COMP_CNT: 1
; COMPUTE_PGM_RSRC3_GFX90A:ACCUM_OFFSET: 5
; COMPUTE_PGM_RSRC3_GFX90A:TG_SPLIT: 0
	.section	.text._ZN9rocsolver6v33100L11gemm_kernelI19rocblas_complex_numIdEiS3_PS3_PKS4_S6_EEvT0_S7_S7_T1_bT2_lS7_S7_lbT3_lS7_S7_lS8_T4_lS7_S7_l,"axG",@progbits,_ZN9rocsolver6v33100L11gemm_kernelI19rocblas_complex_numIdEiS3_PS3_PKS4_S6_EEvT0_S7_S7_T1_bT2_lS7_S7_lbT3_lS7_S7_lS8_T4_lS7_S7_l,comdat
	.globl	_ZN9rocsolver6v33100L11gemm_kernelI19rocblas_complex_numIdEiS3_PS3_PKS4_S6_EEvT0_S7_S7_T1_bT2_lS7_S7_lbT3_lS7_S7_lS8_T4_lS7_S7_l ; -- Begin function _ZN9rocsolver6v33100L11gemm_kernelI19rocblas_complex_numIdEiS3_PS3_PKS4_S6_EEvT0_S7_S7_T1_bT2_lS7_S7_lbT3_lS7_S7_lS8_T4_lS7_S7_l
	.p2align	8
	.type	_ZN9rocsolver6v33100L11gemm_kernelI19rocblas_complex_numIdEiS3_PS3_PKS4_S6_EEvT0_S7_S7_T1_bT2_lS7_S7_lbT3_lS7_S7_lS8_T4_lS7_S7_l,@function
_ZN9rocsolver6v33100L11gemm_kernelI19rocblas_complex_numIdEiS3_PS3_PKS4_S6_EEvT0_S7_S7_T1_bT2_lS7_S7_lbT3_lS7_S7_lS8_T4_lS7_S7_l: ; @_ZN9rocsolver6v33100L11gemm_kernelI19rocblas_complex_numIdEiS3_PS3_PKS4_S6_EEvT0_S7_S7_T1_bT2_lS7_S7_lbT3_lS7_S7_lS8_T4_lS7_S7_l
; %bb.0:
	s_load_dword s0, s[4:5], 0xac
	s_load_dwordx4 s[28:31], s[4:5], 0x0
	v_and_b32_e32 v1, 0x3ff, v0
	v_bfe_u32 v0, v0, 10, 10
	s_waitcnt lgkmcnt(0)
	s_lshr_b32 s1, s0, 16
	s_and_b32 s0, s0, 0xffff
	s_mul_i32 s6, s6, s0
	s_mul_i32 s7, s7, s1
	v_add_u32_e32 v8, s6, v1
	v_add_u32_e32 v9, s7, v0
	v_cmp_gt_i32_e32 vcc, s28, v8
	v_cmp_gt_i32_e64 s[0:1], s29, v9
	s_and_b64 s[0:1], vcc, s[0:1]
	s_and_saveexec_b64 s[2:3], s[0:1]
	s_cbranch_execz .LBB12_5
; %bb.1:
	s_load_dwordx8 s[12:19], s[4:5], 0x70
	s_ashr_i32 s9, s8, 31
	s_lshl_b64 s[0:1], s[8:9], 3
	v_pk_mov_b32 v[0:1], 0, 0
	v_pk_mov_b32 v[2:3], v[0:1], v[0:1] op_sel:[0,1]
	s_waitcnt lgkmcnt(0)
	s_add_u32 s2, s16, s0
	s_addc_u32 s3, s17, s1
	s_load_dwordx2 s[6:7], s[2:3], 0x0
	s_cmp_lt_i32 s30, 1
	s_cbranch_scc1 .LBB12_4
; %bb.2:
	s_load_dwordx4 s[36:39], s[4:5], 0x50
	s_load_dword s2, s[4:5], 0x48
	s_load_dword s3, s[4:5], 0x20
	s_load_dwordx8 s[20:27], s[4:5], 0x28
	s_load_dwordx2 s[16:17], s[4:5], 0x60
	s_waitcnt lgkmcnt(0)
	s_add_u32 s0, s36, s0
	s_addc_u32 s1, s37, s1
	s_bitcmp1_b32 s3, 0
	s_cselect_b64 vcc, -1, 0
	s_bitcmp1_b32 s2, 0
	s_mul_i32 s2, s26, s9
	s_mul_hi_u32 s3, s26, s8
	s_load_dwordx2 s[10:11], s[0:1], 0x0
	s_cselect_b64 s[0:1], -1, 0
	s_add_i32 s2, s3, s2
	s_mul_i32 s3, s27, s8
	s_add_i32 s3, s2, s3
	s_mul_i32 s2, s26, s8
	s_lshl_b64 s[2:3], s[2:3], 4
	s_lshl_b64 s[8:9], s[22:23], 4
	s_add_u32 s2, s2, s8
	v_mul_lo_u32 v0, v8, s24
	s_addc_u32 s3, s3, s9
	v_ashrrev_i32_e32 v1, 31, v0
	s_add_u32 s2, s20, s2
	v_lshlrev_b64 v[0:1], 4, v[0:1]
	s_addc_u32 s3, s21, s3
	v_mov_b32_e32 v3, s3
	v_add_co_u32_e64 v0, s[2:3], s2, v0
	v_addc_co_u32_e64 v1, s[2:3], v3, v1, s[2:3]
	v_add_co_u32_e64 v4, s[2:3], 8, v0
	v_addc_co_u32_e64 v5, s[2:3], 0, v1, s[2:3]
	s_ashr_i32 s3, s25, 31
	s_mov_b32 s2, s25
	v_mul_lo_u32 v2, v9, s17
	s_lshl_b64 s[8:9], s[2:3], 4
	s_lshl_b64 s[2:3], s[38:39], 4
	v_ashrrev_i32_e32 v3, 31, v2
	s_waitcnt lgkmcnt(0)
	s_add_u32 s2, s10, s2
	v_lshlrev_b64 v[0:1], 4, v[2:3]
	s_addc_u32 s3, s11, s3
	v_mov_b32_e32 v2, s3
	v_add_co_u32_e64 v0, s[2:3], s2, v0
	v_addc_co_u32_e64 v1, s[2:3], v2, v1, s[2:3]
	v_add_co_u32_e64 v6, s[2:3], 8, v0
	s_ashr_i32 s17, s16, 31
	v_addc_co_u32_e64 v7, s[2:3], 0, v1, s[2:3]
	s_lshl_b64 s[10:11], s[16:17], 4
	v_pk_mov_b32 v[0:1], 0, 0
	v_mov_b32_e32 v10, s9
	v_mov_b32_e32 v11, s11
	v_pk_mov_b32 v[2:3], v[0:1], v[0:1] op_sel:[0,1]
.LBB12_3:                               ; =>This Inner Loop Header: Depth=1
	global_load_dwordx4 v[12:15], v[4:5], off offset:-8
	global_load_dwordx4 v[16:19], v[6:7], off offset:-8
	v_add_co_u32_e64 v4, s[2:3], s8, v4
	v_addc_co_u32_e64 v5, s[2:3], v5, v10, s[2:3]
	s_add_i32 s30, s30, -1
	v_add_co_u32_e64 v6, s[2:3], s10, v6
	v_addc_co_u32_e64 v7, s[2:3], v7, v11, s[2:3]
	s_cmp_eq_u32 s30, 0
	s_waitcnt vmcnt(1)
	v_xor_b32_e32 v20, 0x80000000, v15
	s_waitcnt vmcnt(0)
	v_xor_b32_e32 v21, 0x80000000, v19
	v_cndmask_b32_e32 v15, v15, v20, vcc
	v_cndmask_b32_e64 v19, v19, v21, s[0:1]
	v_mul_f64 v[20:21], v[14:15], v[18:19]
	v_mul_f64 v[14:15], v[14:15], v[16:17]
	v_fma_f64 v[16:17], v[12:13], v[16:17], -v[20:21]
	v_fmac_f64_e32 v[14:15], v[12:13], v[18:19]
	v_add_f64 v[2:3], v[2:3], v[16:17]
	v_add_f64 v[0:1], v[0:1], v[14:15]
	s_cbranch_scc0 .LBB12_3
.LBB12_4:
	s_load_dwordx4 s[0:3], s[4:5], 0x10
	s_nop 0
	s_load_dwordx2 s[4:5], s[4:5], 0x90
	s_lshl_b64 s[8:9], s[18:19], 4
	s_waitcnt lgkmcnt(0)
	s_add_u32 s6, s6, s8
	s_addc_u32 s7, s7, s9
	v_mov_b32_e32 v6, s7
	v_mul_lo_u32 v4, v8, s4
	v_mad_u64_u32 v[4:5], s[4:5], v9, s5, v[4:5]
	v_ashrrev_i32_e32 v5, 31, v4
	v_lshlrev_b64 v[4:5], 4, v[4:5]
	v_add_co_u32_e32 v8, vcc, s6, v4
	v_addc_co_u32_e32 v9, vcc, v6, v5, vcc
	global_load_dwordx4 v[4:7], v[8:9], off
	v_mul_f64 v[10:11], s[2:3], v[0:1]
	v_mul_f64 v[12:13], s[0:1], v[0:1]
	v_fma_f64 v[0:1], s[0:1], v[2:3], -v[10:11]
	v_fmac_f64_e32 v[12:13], s[2:3], v[2:3]
	s_waitcnt vmcnt(0)
	v_mul_f64 v[2:3], s[14:15], v[6:7]
	v_mul_f64 v[6:7], s[12:13], v[6:7]
	v_fma_f64 v[2:3], s[12:13], v[4:5], -v[2:3]
	v_fmac_f64_e32 v[6:7], s[14:15], v[4:5]
	v_add_f64 v[0:1], v[0:1], v[2:3]
	v_add_f64 v[2:3], v[12:13], v[6:7]
	global_store_dwordx4 v[8:9], v[0:3], off
.LBB12_5:
	s_endpgm
	.section	.rodata,"a",@progbits
	.p2align	6, 0x0
	.amdhsa_kernel _ZN9rocsolver6v33100L11gemm_kernelI19rocblas_complex_numIdEiS3_PS3_PKS4_S6_EEvT0_S7_S7_T1_bT2_lS7_S7_lbT3_lS7_S7_lS8_T4_lS7_S7_l
		.amdhsa_group_segment_fixed_size 0
		.amdhsa_private_segment_fixed_size 0
		.amdhsa_kernarg_size 416
		.amdhsa_user_sgpr_count 6
		.amdhsa_user_sgpr_private_segment_buffer 1
		.amdhsa_user_sgpr_dispatch_ptr 0
		.amdhsa_user_sgpr_queue_ptr 0
		.amdhsa_user_sgpr_kernarg_segment_ptr 1
		.amdhsa_user_sgpr_dispatch_id 0
		.amdhsa_user_sgpr_flat_scratch_init 0
		.amdhsa_user_sgpr_kernarg_preload_length 0
		.amdhsa_user_sgpr_kernarg_preload_offset 0
		.amdhsa_user_sgpr_private_segment_size 0
		.amdhsa_uses_dynamic_stack 0
		.amdhsa_system_sgpr_private_segment_wavefront_offset 0
		.amdhsa_system_sgpr_workgroup_id_x 1
		.amdhsa_system_sgpr_workgroup_id_y 1
		.amdhsa_system_sgpr_workgroup_id_z 1
		.amdhsa_system_sgpr_workgroup_info 0
		.amdhsa_system_vgpr_workitem_id 1
		.amdhsa_next_free_vgpr 22
		.amdhsa_next_free_sgpr 40
		.amdhsa_accum_offset 24
		.amdhsa_reserve_vcc 1
		.amdhsa_reserve_flat_scratch 0
		.amdhsa_float_round_mode_32 0
		.amdhsa_float_round_mode_16_64 0
		.amdhsa_float_denorm_mode_32 3
		.amdhsa_float_denorm_mode_16_64 3
		.amdhsa_dx10_clamp 1
		.amdhsa_ieee_mode 1
		.amdhsa_fp16_overflow 0
		.amdhsa_tg_split 0
		.amdhsa_exception_fp_ieee_invalid_op 0
		.amdhsa_exception_fp_denorm_src 0
		.amdhsa_exception_fp_ieee_div_zero 0
		.amdhsa_exception_fp_ieee_overflow 0
		.amdhsa_exception_fp_ieee_underflow 0
		.amdhsa_exception_fp_ieee_inexact 0
		.amdhsa_exception_int_div_zero 0
	.end_amdhsa_kernel
	.section	.text._ZN9rocsolver6v33100L11gemm_kernelI19rocblas_complex_numIdEiS3_PS3_PKS4_S6_EEvT0_S7_S7_T1_bT2_lS7_S7_lbT3_lS7_S7_lS8_T4_lS7_S7_l,"axG",@progbits,_ZN9rocsolver6v33100L11gemm_kernelI19rocblas_complex_numIdEiS3_PS3_PKS4_S6_EEvT0_S7_S7_T1_bT2_lS7_S7_lbT3_lS7_S7_lS8_T4_lS7_S7_l,comdat
.Lfunc_end12:
	.size	_ZN9rocsolver6v33100L11gemm_kernelI19rocblas_complex_numIdEiS3_PS3_PKS4_S6_EEvT0_S7_S7_T1_bT2_lS7_S7_lbT3_lS7_S7_lS8_T4_lS7_S7_l, .Lfunc_end12-_ZN9rocsolver6v33100L11gemm_kernelI19rocblas_complex_numIdEiS3_PS3_PKS4_S6_EEvT0_S7_S7_T1_bT2_lS7_S7_lbT3_lS7_S7_lS8_T4_lS7_S7_l
                                        ; -- End function
	.section	.AMDGPU.csdata,"",@progbits
; Kernel info:
; codeLenInByte = 756
; NumSgprs: 44
; NumVgprs: 22
; NumAgprs: 0
; TotalNumVgprs: 22
; ScratchSize: 0
; MemoryBound: 0
; FloatMode: 240
; IeeeMode: 1
; LDSByteSize: 0 bytes/workgroup (compile time only)
; SGPRBlocks: 5
; VGPRBlocks: 2
; NumSGPRsForWavesPerEU: 44
; NumVGPRsForWavesPerEU: 22
; AccumOffset: 24
; Occupancy: 8
; WaveLimiterHint : 1
; COMPUTE_PGM_RSRC2:SCRATCH_EN: 0
; COMPUTE_PGM_RSRC2:USER_SGPR: 6
; COMPUTE_PGM_RSRC2:TRAP_HANDLER: 0
; COMPUTE_PGM_RSRC2:TGID_X_EN: 1
; COMPUTE_PGM_RSRC2:TGID_Y_EN: 1
; COMPUTE_PGM_RSRC2:TGID_Z_EN: 1
; COMPUTE_PGM_RSRC2:TIDIG_COMP_CNT: 1
; COMPUTE_PGM_RSRC3_GFX90A:ACCUM_OFFSET: 5
; COMPUTE_PGM_RSRC3_GFX90A:TG_SPLIT: 0
	.section	.text._ZN9rocsolver6v33100L16mfma_gemm_kernelI19rocblas_complex_numIdEiPKS3_PKPS3_S6_S8_EEv18rocblas_operation_S9_T0_SA_SA_T1_T2_lSA_SA_lT3_lSA_SA_lSB_T4_lSA_SA_l,"axG",@progbits,_ZN9rocsolver6v33100L16mfma_gemm_kernelI19rocblas_complex_numIdEiPKS3_PKPS3_S6_S8_EEv18rocblas_operation_S9_T0_SA_SA_T1_T2_lSA_SA_lT3_lSA_SA_lSB_T4_lSA_SA_l,comdat
	.globl	_ZN9rocsolver6v33100L16mfma_gemm_kernelI19rocblas_complex_numIdEiPKS3_PKPS3_S6_S8_EEv18rocblas_operation_S9_T0_SA_SA_T1_T2_lSA_SA_lT3_lSA_SA_lSB_T4_lSA_SA_l ; -- Begin function _ZN9rocsolver6v33100L16mfma_gemm_kernelI19rocblas_complex_numIdEiPKS3_PKPS3_S6_S8_EEv18rocblas_operation_S9_T0_SA_SA_T1_T2_lSA_SA_lT3_lSA_SA_lSB_T4_lSA_SA_l
	.p2align	8
	.type	_ZN9rocsolver6v33100L16mfma_gemm_kernelI19rocblas_complex_numIdEiPKS3_PKPS3_S6_S8_EEv18rocblas_operation_S9_T0_SA_SA_T1_T2_lSA_SA_lT3_lSA_SA_lSB_T4_lSA_SA_l,@function
_ZN9rocsolver6v33100L16mfma_gemm_kernelI19rocblas_complex_numIdEiPKS3_PKPS3_S6_S8_EEv18rocblas_operation_S9_T0_SA_SA_T1_T2_lSA_SA_lT3_lSA_SA_lSB_T4_lSA_SA_l: ; @_ZN9rocsolver6v33100L16mfma_gemm_kernelI19rocblas_complex_numIdEiPKS3_PKPS3_S6_S8_EEv18rocblas_operation_S9_T0_SA_SA_T1_T2_lSA_SA_lT3_lSA_SA_lSB_T4_lSA_SA_l
; %bb.0:
	s_load_dword s0, s[4:5], 0x94
	s_load_dwordx4 s[28:31], s[4:5], 0x0
	v_and_b32_e32 v34, 0x3ff, v0
	v_bfe_u32 v0, v0, 10, 10
	v_lshrrev_b32_e32 v1, 6, v34
	s_waitcnt lgkmcnt(0)
	s_lshr_b32 s1, s0, 16
	s_bfe_u32 s0, s0, 0xa0006
	s_mul_i32 s7, s7, s1
	s_mul_i32 s6, s6, s0
	v_add_u32_e32 v0, s7, v0
	v_add_lshl_u32 v35, s6, v1, 4
	v_lshlrev_b32_e32 v36, 4, v0
	v_cmp_gt_i32_e32 vcc, s30, v35
	v_cmp_gt_i32_e64 s[0:1], s31, v36
	s_and_b64 s[0:1], vcc, s[0:1]
	s_and_saveexec_b64 s[2:3], s[0:1]
	s_cbranch_execz .LBB13_36
; %bb.1:
	s_ashr_i32 s6, s30, 31
	s_lshr_b32 s6, s6, 28
	s_add_i32 s6, s30, s6
	s_and_b32 s6, s6, -16
	s_sub_i32 s6, s30, s6
	v_mov_b32_e32 v1, s6
	s_ashr_i32 s6, s31, 31
	s_load_dword s33, s[4:5], 0x10
	s_load_dwordx4 s[0:3], s[4:5], 0x18
	s_load_dwordx8 s[12:19], s[4:5], 0x58
	s_lshr_b32 s6, s6, 28
	s_add_i32 s6, s31, s6
	v_add_u32_e32 v0, 16, v35
	s_and_b32 s6, s6, -16
	v_cmp_lt_i32_e32 vcc, s30, v0
	s_sub_i32 s6, s31, s6
	s_ashr_i32 s9, s8, 31
	v_cndmask_b32_e32 v32, 16, v1, vcc
	v_mov_b32_e32 v1, s6
	s_lshl_b64 s[6:7], s[8:9], 3
	s_waitcnt lgkmcnt(0)
	s_load_dwordx4 s[24:27], s[0:1], 0x0
	s_load_dwordx4 s[20:23], s[14:15], 0x0
	s_add_u32 s0, s16, s6
	s_addc_u32 s1, s17, s7
	s_load_dwordx2 s[14:15], s[0:1], 0x0
	v_add_u32_e32 v0, 16, v36
	v_cmp_lt_i32_e32 vcc, s31, v0
	v_cndmask_b32_e32 v37, 16, v1, vcc
	v_bfe_u32 v38, v34, 2, 4
	v_pk_mov_b32 v[20:21], 0, 0
	v_and_b32_e32 v33, 3, v34
	s_cmp_lt_i32 s33, 1
	v_cmp_lt_i32_e64 s[0:1], v38, v37
	v_mbcnt_lo_u32_b32 v39, -1, 0
	v_pk_mov_b32 v[22:23], v[20:21], v[20:21] op_sel:[0,1]
	v_pk_mov_b32 v[8:9], v[20:21], v[20:21] op_sel:[0,1]
	;; [unrolled: 1-line block ×7, first 2 shown]
	s_cbranch_scc1 .LBB13_28
; %bb.2:
	s_add_u32 s2, s2, s6
	s_addc_u32 s3, s3, s7
	s_load_dwordx4 s[36:39], s[4:5], 0x28
	s_load_dwordx2 s[6:7], s[2:3], 0x0
	s_load_dwordx4 s[40:43], s[4:5], 0x40
	s_load_dwordx2 s[34:35], s[4:5], 0x50
	v_and_b32_e32 v2, 63, v34
	v_lshrrev_b32_e32 v44, 4, v2
	s_waitcnt lgkmcnt(0)
	s_lshl_b64 s[2:3], s[36:37], 4
	s_add_u32 s6, s6, s2
	s_addc_u32 s7, s7, s3
	s_mul_i32 s2, s8, s13
	s_mul_hi_u32 s3, s8, s12
	s_add_i32 s2, s3, s2
	s_mul_i32 s3, s9, s12
	s_add_i32 s3, s2, s3
	s_mul_i32 s2, s8, s12
	s_lshl_b64 s[2:3], s[2:3], 4
	s_add_u32 s8, s40, s2
	s_addc_u32 s9, s41, s3
	s_lshl_b64 s[2:3], s[42:43], 4
	s_add_u32 s2, s8, s2
	s_addc_u32 s3, s9, s3
	s_cmpk_lg_i32 s28, 0x6f
	s_cselect_b64 s[16:17], -1, 0
	s_cmpk_eq_i32 s28, 0x6f
	s_cselect_b32 s8, s38, s39
	v_mul_lo_u32 v0, v35, s8
	v_ashrrev_i32_e32 v1, 31, v0
	s_cmpk_lg_i32 s29, 0x6f
	v_lshlrev_b64 v[0:1], 4, v[0:1]
	s_cselect_b64 s[30:31], -1, 0
	s_cmpk_eq_i32 s29, 0x6f
	v_add_co_u32_e32 v40, vcc, s6, v0
	s_cselect_b32 s6, s35, s34
	v_mov_b32_e32 v3, s7
	v_mul_lo_u32 v0, v36, s6
	v_addc_co_u32_e32 v41, vcc, v3, v1, vcc
	v_ashrrev_i32_e32 v1, 31, v0
	v_lshlrev_b64 v[0:1], 4, v[0:1]
	v_mov_b32_e32 v3, s3
	v_add_co_u32_e32 v42, vcc, s2, v0
	v_addc_co_u32_e32 v43, vcc, v3, v1, vcc
	v_and_b32_e32 v1, 15, v34
	v_mul_lo_u32 v0, v1, s38
	s_cmpk_eq_i32 s28, 0x71
	s_cselect_b64 s[10:11], -1, 0
	s_cmpk_eq_i32 s29, 0x71
	v_mad_u64_u32 v[24:25], s[28:29], s39, v44, v[0:1]
	v_mul_lo_u32 v0, s38, v33
	v_mad_u64_u32 v[26:27], s[28:29], v38, s39, v[0:1]
	v_mul_lo_u32 v0, s34, v33
	v_lshl_or_b32 v3, v1, 2, v44
	v_mad_u64_u32 v[28:29], s[28:29], v38, s35, v[0:1]
	v_mbcnt_hi_u32_b32 v0, -1, v39
	v_mul_lo_u32 v2, v1, s34
	v_pk_mov_b32 v[8:9], 0, 0
	v_and_or_b32 v0, v0, 64, v3
	v_cmp_lt_i32_e64 s[2:3], v38, v32
	v_cmp_lt_i32_e64 s[6:7], v1, v32
	;; [unrolled: 1-line block ×3, first 2 shown]
	s_cselect_b64 s[12:13], -1, 0
	s_lshl_b32 s40, s39, 2
	s_lshl_b32 s38, s38, 2
	;; [unrolled: 1-line block ×3, first 2 shown]
	v_mad_u64_u32 v[30:31], s[28:29], s35, v44, v[2:3]
	s_lshl_b32 s41, s35, 2
	s_mov_b32 s42, 0
	v_lshlrev_b32_e32 v45, 2, v0
	v_pk_mov_b32 v[12:13], v[8:9], v[8:9] op_sel:[0,1]
	v_pk_mov_b32 v[16:17], v[8:9], v[8:9] op_sel:[0,1]
	;; [unrolled: 1-line block ×7, first 2 shown]
	s_branch .LBB13_6
.LBB13_3:                               ;   in Loop: Header=BB13_6 Depth=1
	s_or_b64 exec, exec, s[34:35]
.LBB13_4:                               ;   in Loop: Header=BB13_6 Depth=1
	s_or_b64 exec, exec, s[28:29]
	s_waitcnt vmcnt(0)
	ds_bpermute_b32 v4, v45, v4
	ds_bpermute_b32 v5, v45, v5
	;; [unrolled: 1-line block ×4, first 2 shown]
.LBB13_5:                               ;   in Loop: Header=BB13_6 Depth=1
	s_waitcnt vmcnt(0) lgkmcnt(0)
	v_xor_b32_e32 v25, 0x80000000, v3
	v_cndmask_b32_e64 v3, v3, v25, s[10:11]
	v_cndmask_b32_e64 v2, v2, v2, s[10:11]
	v_xor_b32_e32 v25, 0x80000000, v7
	v_cndmask_b32_e64 v7, v7, v25, s[12:13]
	v_cndmask_b32_e64 v6, v6, v6, s[12:13]
	v_mfma_f64_16x16x4f64 v[46:53], v[0:1], v[4:5], 0
	s_add_i32 s42, s42, 4
	s_cmp_ge_i32 s42, s33
	v_add_u32_e32 v24, s40, v24
	v_add_u32_e32 v26, s38, v26
	;; [unrolled: 1-line block ×4, first 2 shown]
	v_mfma_f64_16x16x4f64 v[54:61], v[2:3], v[6:7], 0
	s_nop 7
	s_nop 2
	v_add_f64 v[60:61], v[52:53], -v[60:61]
	v_add_f64 v[58:59], v[50:51], -v[58:59]
	;; [unrolled: 1-line block ×4, first 2 shown]
	v_add_f64 v[20:21], v[20:21], v[54:55]
	v_add_f64 v[18:19], v[18:19], v[56:57]
	;; [unrolled: 1-line block ×4, first 2 shown]
	v_mfma_f64_16x16x4f64 v[46:53], v[0:1], v[6:7], 0
	v_mfma_f64_16x16x4f64 v[0:7], v[2:3], v[4:5], 0
	s_nop 7
	s_nop 2
	v_add_f64 v[6:7], v[52:53], v[6:7]
	v_add_f64 v[4:5], v[50:51], v[4:5]
	;; [unrolled: 1-line block ×8, first 2 shown]
	s_cbranch_scc1 .LBB13_28
.LBB13_6:                               ; =>This Inner Loop Header: Depth=1
	s_and_b64 vcc, exec, s[16:17]
	s_cbranch_vccz .LBB13_18
; %bb.7:                                ;   in Loop: Header=BB13_6 Depth=1
	v_pk_mov_b32 v[0:1], 0, 0
	s_mov_b64 s[28:29], 0
	v_pk_mov_b32 v[2:3], v[0:1], v[0:1] op_sel:[0,1]
	s_and_saveexec_b64 s[34:35], s[2:3]
	s_cbranch_execz .LBB13_11
; %bb.8:                                ;   in Loop: Header=BB13_6 Depth=1
	v_add_u32_e32 v0, s42, v33
	v_pk_mov_b32 v[2:3], 0, 0
	v_cmp_gt_i32_e32 vcc, s33, v0
	v_pk_mov_b32 v[0:1], v[2:3], v[2:3] op_sel:[0,1]
	s_and_saveexec_b64 s[36:37], vcc
	s_cbranch_execz .LBB13_10
; %bb.9:                                ;   in Loop: Header=BB13_6 Depth=1
	v_ashrrev_i32_e32 v27, 31, v26
	v_lshlrev_b64 v[0:1], 4, v[26:27]
	v_add_co_u32_e32 v0, vcc, v40, v0
	v_addc_co_u32_e32 v1, vcc, v41, v1, vcc
	global_load_dwordx4 v[0:3], v[0:1], off
.LBB13_10:                              ;   in Loop: Header=BB13_6 Depth=1
	s_or_b64 exec, exec, s[36:37]
.LBB13_11:                              ;   in Loop: Header=BB13_6 Depth=1
	s_or_b64 exec, exec, s[34:35]
	s_waitcnt vmcnt(0)
	ds_bpermute_b32 v0, v45, v0
	ds_bpermute_b32 v1, v45, v1
	;; [unrolled: 1-line block ×4, first 2 shown]
	s_and_b64 vcc, exec, s[28:29]
	s_cbranch_vccnz .LBB13_19
.LBB13_12:                              ;   in Loop: Header=BB13_6 Depth=1
	s_and_b64 vcc, exec, s[30:31]
	s_cbranch_vccz .LBB13_24
.LBB13_13:                              ;   in Loop: Header=BB13_6 Depth=1
	v_pk_mov_b32 v[6:7], 0, 0
	s_mov_b64 s[28:29], 0
	v_pk_mov_b32 v[4:5], v[6:7], v[6:7] op_sel:[0,1]
	s_and_saveexec_b64 s[34:35], s[8:9]
	s_cbranch_execz .LBB13_17
; %bb.14:                               ;   in Loop: Header=BB13_6 Depth=1
	v_add_u32_e32 v4, s42, v44
	v_pk_mov_b32 v[6:7], 0, 0
	v_cmp_gt_i32_e32 vcc, s33, v4
	v_pk_mov_b32 v[4:5], v[6:7], v[6:7] op_sel:[0,1]
	s_and_saveexec_b64 s[36:37], vcc
	s_cbranch_execz .LBB13_16
; %bb.15:                               ;   in Loop: Header=BB13_6 Depth=1
	v_ashrrev_i32_e32 v31, 31, v30
	v_lshlrev_b64 v[4:5], 4, v[30:31]
	v_add_co_u32_e32 v4, vcc, v42, v4
	v_addc_co_u32_e32 v5, vcc, v43, v5, vcc
	global_load_dwordx4 v[4:7], v[4:5], off
.LBB13_16:                              ;   in Loop: Header=BB13_6 Depth=1
	s_or_b64 exec, exec, s[36:37]
.LBB13_17:                              ;   in Loop: Header=BB13_6 Depth=1
	s_or_b64 exec, exec, s[34:35]
	s_andn2_b64 vcc, exec, s[28:29]
	s_cbranch_vccnz .LBB13_5
	s_branch .LBB13_25
.LBB13_18:                              ;   in Loop: Header=BB13_6 Depth=1
                                        ; implicit-def: $vgpr2_vgpr3
	s_cbranch_execz .LBB13_12
.LBB13_19:                              ;   in Loop: Header=BB13_6 Depth=1
	s_waitcnt lgkmcnt(0)
	v_pk_mov_b32 v[2:3], 0, 0
	v_pk_mov_b32 v[0:1], v[2:3], v[2:3] op_sel:[0,1]
	s_and_saveexec_b64 s[28:29], s[6:7]
	s_cbranch_execz .LBB13_23
; %bb.20:                               ;   in Loop: Header=BB13_6 Depth=1
	v_add_u32_e32 v0, s42, v44
	v_pk_mov_b32 v[2:3], 0, 0
	v_cmp_gt_i32_e32 vcc, s33, v0
	v_pk_mov_b32 v[0:1], v[2:3], v[2:3] op_sel:[0,1]
	s_and_saveexec_b64 s[34:35], vcc
	s_cbranch_execz .LBB13_22
; %bb.21:                               ;   in Loop: Header=BB13_6 Depth=1
	v_ashrrev_i32_e32 v25, 31, v24
	v_lshlrev_b64 v[0:1], 4, v[24:25]
	v_add_co_u32_e32 v0, vcc, v40, v0
	v_addc_co_u32_e32 v1, vcc, v41, v1, vcc
	global_load_dwordx4 v[0:3], v[0:1], off
.LBB13_22:                              ;   in Loop: Header=BB13_6 Depth=1
	s_or_b64 exec, exec, s[34:35]
.LBB13_23:                              ;   in Loop: Header=BB13_6 Depth=1
	s_or_b64 exec, exec, s[28:29]
	s_and_b64 vcc, exec, s[30:31]
	s_cbranch_vccnz .LBB13_13
.LBB13_24:                              ;   in Loop: Header=BB13_6 Depth=1
                                        ; implicit-def: $vgpr6_vgpr7
.LBB13_25:                              ;   in Loop: Header=BB13_6 Depth=1
	s_waitcnt vmcnt(0)
	v_pk_mov_b32 v[4:5], 0, 0
	v_pk_mov_b32 v[6:7], v[4:5], v[4:5] op_sel:[0,1]
	s_and_saveexec_b64 s[28:29], s[0:1]
	s_cbranch_execz .LBB13_4
; %bb.26:                               ;   in Loop: Header=BB13_6 Depth=1
	v_add_u32_e32 v4, s42, v33
	v_pk_mov_b32 v[6:7], 0, 0
	v_cmp_gt_i32_e32 vcc, s33, v4
	v_pk_mov_b32 v[4:5], v[6:7], v[6:7] op_sel:[0,1]
	s_and_saveexec_b64 s[34:35], vcc
	s_cbranch_execz .LBB13_3
; %bb.27:                               ;   in Loop: Header=BB13_6 Depth=1
	v_ashrrev_i32_e32 v29, 31, v28
	v_lshlrev_b64 v[4:5], 4, v[28:29]
	v_add_co_u32_e32 v4, vcc, v42, v4
	v_addc_co_u32_e32 v5, vcc, v43, v5, vcc
	global_load_dwordx4 v[4:7], v[4:5], off
	s_branch .LBB13_3
.LBB13_28:
	s_load_dwordx2 s[2:3], s[4:5], 0x78
	s_lshl_b64 s[0:1], s[18:19], 4
	s_waitcnt lgkmcnt(0)
	s_add_u32 s4, s14, s0
	s_addc_u32 s5, s15, s1
	v_mul_lo_u32 v0, v35, s2
	v_mad_u64_u32 v[0:1], s[0:1], v36, s3, v[0:1]
	v_ashrrev_i32_e32 v1, 31, v0
	v_lshlrev_b64 v[2:3], 4, v[0:1]
	v_mov_b32_e32 v0, s5
	v_add_co_u32_e32 v1, vcc, s4, v2
	v_addc_co_u32_e32 v6, vcc, v0, v3, vcc
	v_lshlrev_b32_e32 v0, 4, v34
	v_mbcnt_hi_u32_b32 v2, -1, v39
	v_and_b32_e32 v0, 48, v0
	v_and_b32_e32 v2, 64, v2
	v_or3_b32 v0, v0, v2, v38
	v_lshlrev_b32_e32 v7, 2, v0
	ds_bpermute_b32 v2, v7, v20
	ds_bpermute_b32 v3, v7, v21
	;; [unrolled: 1-line block ×4, first 2 shown]
	v_cmp_lt_i32_e32 vcc, v38, v37
	v_cmp_lt_i32_e64 s[0:1], v33, v32
	v_mul_lo_u32 v0, v38, s3
	s_and_b64 s[0:1], vcc, s[0:1]
	s_and_saveexec_b64 s[4:5], s[0:1]
	s_cbranch_execz .LBB13_30
; %bb.29:
	v_mad_u64_u32 v[20:21], s[0:1], v33, s2, v[0:1]
	v_ashrrev_i32_e32 v21, 31, v20
	v_lshlrev_b64 v[20:21], 4, v[20:21]
	v_add_co_u32_e64 v24, s[0:1], v1, v20
	v_addc_co_u32_e64 v25, s[0:1], v6, v21, s[0:1]
	global_load_dwordx4 v[20:23], v[24:25], off
	s_waitcnt lgkmcnt(0)
	v_mul_f64 v[26:27], s[26:27], v[4:5]
	v_mul_f64 v[4:5], s[24:25], v[4:5]
	v_fma_f64 v[26:27], s[24:25], v[2:3], -v[26:27]
	v_fmac_f64_e32 v[4:5], s[26:27], v[2:3]
	s_waitcnt vmcnt(0)
	v_mul_f64 v[2:3], s[22:23], v[22:23]
	v_mul_f64 v[22:23], s[20:21], v[22:23]
	v_fma_f64 v[2:3], s[20:21], v[20:21], -v[2:3]
	v_fmac_f64_e32 v[22:23], s[22:23], v[20:21]
	v_add_f64 v[2:3], v[26:27], v[2:3]
	v_add_f64 v[4:5], v[4:5], v[22:23]
	global_store_dwordx4 v[24:25], v[2:5], off
.LBB13_30:
	s_or_b64 exec, exec, s[4:5]
	s_waitcnt lgkmcnt(3)
	ds_bpermute_b32 v2, v7, v18
	s_waitcnt lgkmcnt(3)
	ds_bpermute_b32 v3, v7, v19
	s_waitcnt lgkmcnt(3)
	ds_bpermute_b32 v4, v7, v16
	s_waitcnt lgkmcnt(3)
	ds_bpermute_b32 v5, v7, v17
	v_or_b32_e32 v16, 4, v33
	v_cmp_lt_i32_e64 s[0:1], v16, v32
	s_and_b64 s[0:1], vcc, s[0:1]
	s_and_saveexec_b64 s[4:5], s[0:1]
	s_cbranch_execz .LBB13_32
; %bb.31:
	v_mad_u64_u32 v[16:17], s[0:1], v16, s2, v[0:1]
	v_ashrrev_i32_e32 v17, 31, v16
	v_lshlrev_b64 v[16:17], 4, v[16:17]
	v_add_co_u32_e64 v20, s[0:1], v1, v16
	v_addc_co_u32_e64 v21, s[0:1], v6, v17, s[0:1]
	global_load_dwordx4 v[16:19], v[20:21], off
	s_waitcnt lgkmcnt(0)
	v_mul_f64 v[22:23], s[26:27], v[4:5]
	v_mul_f64 v[4:5], s[24:25], v[4:5]
	v_fma_f64 v[22:23], s[24:25], v[2:3], -v[22:23]
	v_fmac_f64_e32 v[4:5], s[26:27], v[2:3]
	s_waitcnt vmcnt(0)
	v_mul_f64 v[2:3], s[22:23], v[18:19]
	v_mul_f64 v[18:19], s[20:21], v[18:19]
	v_fma_f64 v[2:3], s[20:21], v[16:17], -v[2:3]
	v_fmac_f64_e32 v[18:19], s[22:23], v[16:17]
	v_add_f64 v[2:3], v[22:23], v[2:3]
	v_add_f64 v[4:5], v[4:5], v[18:19]
	global_store_dwordx4 v[20:21], v[2:5], off
.LBB13_32:
	s_or_b64 exec, exec, s[4:5]
	s_waitcnt lgkmcnt(3)
	ds_bpermute_b32 v2, v7, v14
	s_waitcnt lgkmcnt(3)
	ds_bpermute_b32 v3, v7, v15
	s_waitcnt lgkmcnt(3)
	ds_bpermute_b32 v4, v7, v12
	s_waitcnt lgkmcnt(3)
	ds_bpermute_b32 v5, v7, v13
	v_or_b32_e32 v12, 8, v33
	v_cmp_lt_i32_e64 s[0:1], v12, v32
	;; [unrolled: 35-line block ×3, first 2 shown]
	s_and_b64 s[0:1], vcc, s[0:1]
	s_and_b64 exec, exec, s[0:1]
	s_cbranch_execz .LBB13_36
; %bb.35:
	v_mad_u64_u32 v[8:9], s[0:1], v7, s2, v[0:1]
	v_ashrrev_i32_e32 v9, 31, v8
	v_lshlrev_b64 v[8:9], 4, v[8:9]
	v_add_co_u32_e32 v10, vcc, v1, v8
	v_addc_co_u32_e32 v11, vcc, v6, v9, vcc
	global_load_dwordx4 v[6:9], v[10:11], off
	s_waitcnt lgkmcnt(0)
	v_mul_f64 v[0:1], s[26:27], v[4:5]
	v_mul_f64 v[4:5], s[24:25], v[4:5]
	v_fma_f64 v[0:1], s[24:25], v[2:3], -v[0:1]
	v_fmac_f64_e32 v[4:5], s[26:27], v[2:3]
	s_waitcnt vmcnt(0)
	v_mul_f64 v[2:3], s[22:23], v[8:9]
	v_mul_f64 v[8:9], s[20:21], v[8:9]
	v_fma_f64 v[2:3], s[20:21], v[6:7], -v[2:3]
	v_fmac_f64_e32 v[8:9], s[22:23], v[6:7]
	v_add_f64 v[0:1], v[0:1], v[2:3]
	v_add_f64 v[2:3], v[4:5], v[8:9]
	global_store_dwordx4 v[10:11], v[0:3], off
.LBB13_36:
	s_endpgm
	.section	.rodata,"a",@progbits
	.p2align	6, 0x0
	.amdhsa_kernel _ZN9rocsolver6v33100L16mfma_gemm_kernelI19rocblas_complex_numIdEiPKS3_PKPS3_S6_S8_EEv18rocblas_operation_S9_T0_SA_SA_T1_T2_lSA_SA_lT3_lSA_SA_lSB_T4_lSA_SA_l
		.amdhsa_group_segment_fixed_size 0
		.amdhsa_private_segment_fixed_size 0
		.amdhsa_kernarg_size 392
		.amdhsa_user_sgpr_count 6
		.amdhsa_user_sgpr_private_segment_buffer 1
		.amdhsa_user_sgpr_dispatch_ptr 0
		.amdhsa_user_sgpr_queue_ptr 0
		.amdhsa_user_sgpr_kernarg_segment_ptr 1
		.amdhsa_user_sgpr_dispatch_id 0
		.amdhsa_user_sgpr_flat_scratch_init 0
		.amdhsa_user_sgpr_kernarg_preload_length 0
		.amdhsa_user_sgpr_kernarg_preload_offset 0
		.amdhsa_user_sgpr_private_segment_size 0
		.amdhsa_uses_dynamic_stack 0
		.amdhsa_system_sgpr_private_segment_wavefront_offset 0
		.amdhsa_system_sgpr_workgroup_id_x 1
		.amdhsa_system_sgpr_workgroup_id_y 1
		.amdhsa_system_sgpr_workgroup_id_z 1
		.amdhsa_system_sgpr_workgroup_info 0
		.amdhsa_system_vgpr_workitem_id 1
		.amdhsa_next_free_vgpr 62
		.amdhsa_next_free_sgpr 44
		.amdhsa_accum_offset 64
		.amdhsa_reserve_vcc 1
		.amdhsa_reserve_flat_scratch 0
		.amdhsa_float_round_mode_32 0
		.amdhsa_float_round_mode_16_64 0
		.amdhsa_float_denorm_mode_32 3
		.amdhsa_float_denorm_mode_16_64 3
		.amdhsa_dx10_clamp 1
		.amdhsa_ieee_mode 1
		.amdhsa_fp16_overflow 0
		.amdhsa_tg_split 0
		.amdhsa_exception_fp_ieee_invalid_op 0
		.amdhsa_exception_fp_denorm_src 0
		.amdhsa_exception_fp_ieee_div_zero 0
		.amdhsa_exception_fp_ieee_overflow 0
		.amdhsa_exception_fp_ieee_underflow 0
		.amdhsa_exception_fp_ieee_inexact 0
		.amdhsa_exception_int_div_zero 0
	.end_amdhsa_kernel
	.section	.text._ZN9rocsolver6v33100L16mfma_gemm_kernelI19rocblas_complex_numIdEiPKS3_PKPS3_S6_S8_EEv18rocblas_operation_S9_T0_SA_SA_T1_T2_lSA_SA_lT3_lSA_SA_lSB_T4_lSA_SA_l,"axG",@progbits,_ZN9rocsolver6v33100L16mfma_gemm_kernelI19rocblas_complex_numIdEiPKS3_PKPS3_S6_S8_EEv18rocblas_operation_S9_T0_SA_SA_T1_T2_lSA_SA_lT3_lSA_SA_lSB_T4_lSA_SA_l,comdat
.Lfunc_end13:
	.size	_ZN9rocsolver6v33100L16mfma_gemm_kernelI19rocblas_complex_numIdEiPKS3_PKPS3_S6_S8_EEv18rocblas_operation_S9_T0_SA_SA_T1_T2_lSA_SA_lT3_lSA_SA_lSB_T4_lSA_SA_l, .Lfunc_end13-_ZN9rocsolver6v33100L16mfma_gemm_kernelI19rocblas_complex_numIdEiPKS3_PKPS3_S6_S8_EEv18rocblas_operation_S9_T0_SA_SA_T1_T2_lSA_SA_lT3_lSA_SA_lSB_T4_lSA_SA_l
                                        ; -- End function
	.section	.AMDGPU.csdata,"",@progbits
; Kernel info:
; codeLenInByte = 2448
; NumSgprs: 48
; NumVgprs: 62
; NumAgprs: 0
; TotalNumVgprs: 62
; ScratchSize: 0
; MemoryBound: 1
; FloatMode: 240
; IeeeMode: 1
; LDSByteSize: 0 bytes/workgroup (compile time only)
; SGPRBlocks: 5
; VGPRBlocks: 7
; NumSGPRsForWavesPerEU: 48
; NumVGPRsForWavesPerEU: 62
; AccumOffset: 64
; Occupancy: 8
; WaveLimiterHint : 1
; COMPUTE_PGM_RSRC2:SCRATCH_EN: 0
; COMPUTE_PGM_RSRC2:USER_SGPR: 6
; COMPUTE_PGM_RSRC2:TRAP_HANDLER: 0
; COMPUTE_PGM_RSRC2:TGID_X_EN: 1
; COMPUTE_PGM_RSRC2:TGID_Y_EN: 1
; COMPUTE_PGM_RSRC2:TGID_Z_EN: 1
; COMPUTE_PGM_RSRC2:TIDIG_COMP_CNT: 1
; COMPUTE_PGM_RSRC3_GFX90A:ACCUM_OFFSET: 15
; COMPUTE_PGM_RSRC3_GFX90A:TG_SPLIT: 0
	.section	.text._ZN9rocsolver6v33100L16mfma_gemm_kernelI19rocblas_complex_numIdEiS3_PKPS3_S4_S6_EEv18rocblas_operation_S7_T0_S8_S8_T1_T2_lS8_S8_lT3_lS8_S8_lS9_T4_lS8_S8_l,"axG",@progbits,_ZN9rocsolver6v33100L16mfma_gemm_kernelI19rocblas_complex_numIdEiS3_PKPS3_S4_S6_EEv18rocblas_operation_S7_T0_S8_S8_T1_T2_lS8_S8_lT3_lS8_S8_lS9_T4_lS8_S8_l,comdat
	.globl	_ZN9rocsolver6v33100L16mfma_gemm_kernelI19rocblas_complex_numIdEiS3_PKPS3_S4_S6_EEv18rocblas_operation_S7_T0_S8_S8_T1_T2_lS8_S8_lT3_lS8_S8_lS9_T4_lS8_S8_l ; -- Begin function _ZN9rocsolver6v33100L16mfma_gemm_kernelI19rocblas_complex_numIdEiS3_PKPS3_S4_S6_EEv18rocblas_operation_S7_T0_S8_S8_T1_T2_lS8_S8_lT3_lS8_S8_lS9_T4_lS8_S8_l
	.p2align	8
	.type	_ZN9rocsolver6v33100L16mfma_gemm_kernelI19rocblas_complex_numIdEiS3_PKPS3_S4_S6_EEv18rocblas_operation_S7_T0_S8_S8_T1_T2_lS8_S8_lT3_lS8_S8_lS9_T4_lS8_S8_l,@function
_ZN9rocsolver6v33100L16mfma_gemm_kernelI19rocblas_complex_numIdEiS3_PKPS3_S4_S6_EEv18rocblas_operation_S7_T0_S8_S8_T1_T2_lS8_S8_lT3_lS8_S8_lS9_T4_lS8_S8_l: ; @_ZN9rocsolver6v33100L16mfma_gemm_kernelI19rocblas_complex_numIdEiS3_PKPS3_S4_S6_EEv18rocblas_operation_S7_T0_S8_S8_T1_T2_lS8_S8_lT3_lS8_S8_lS9_T4_lS8_S8_l
; %bb.0:
	s_load_dword s0, s[4:5], 0xa4
	s_load_dwordx4 s[28:31], s[4:5], 0x0
	v_and_b32_e32 v34, 0x3ff, v0
	v_bfe_u32 v0, v0, 10, 10
	v_lshrrev_b32_e32 v1, 6, v34
	s_waitcnt lgkmcnt(0)
	s_lshr_b32 s1, s0, 16
	s_bfe_u32 s0, s0, 0xa0006
	s_mul_i32 s7, s7, s1
	s_mul_i32 s6, s6, s0
	v_add_u32_e32 v0, s7, v0
	v_add_lshl_u32 v36, s6, v1, 4
	v_lshlrev_b32_e32 v37, 4, v0
	v_cmp_gt_i32_e32 vcc, s30, v36
	v_cmp_gt_i32_e64 s[0:1], s31, v37
	s_and_b64 s[0:1], vcc, s[0:1]
	s_and_saveexec_b64 s[2:3], s[0:1]
	s_cbranch_execz .LBB14_36
; %bb.1:
	s_ashr_i32 s0, s30, 31
	s_lshr_b32 s0, s0, 28
	s_add_i32 s0, s30, s0
	s_and_b32 s0, s0, -16
	s_sub_i32 s0, s30, s0
	s_load_dword s33, s[4:5], 0x10
	s_load_dwordx8 s[20:27], s[4:5], 0x18
	s_load_dwordx2 s[34:35], s[4:5], 0x80
	s_load_dwordx8 s[12:19], s[4:5], 0x60
	v_mov_b32_e32 v1, s0
	s_ashr_i32 s0, s31, 31
	s_lshr_b32 s0, s0, 28
	s_add_i32 s0, s31, s0
	v_add_u32_e32 v0, 16, v36
	s_and_b32 s0, s0, -16
	s_ashr_i32 s9, s8, 31
	v_cmp_lt_i32_e32 vcc, s30, v0
	s_sub_i32 s0, s31, s0
	s_lshl_b64 s[2:3], s[8:9], 3
	v_cndmask_b32_e32 v32, 16, v1, vcc
	v_mov_b32_e32 v1, s0
	s_waitcnt lgkmcnt(0)
	s_add_u32 s0, s18, s2
	s_addc_u32 s1, s19, s3
	s_load_dwordx2 s[18:19], s[0:1], 0x0
	v_add_u32_e32 v0, 16, v37
	v_cmp_lt_i32_e32 vcc, s31, v0
	v_cndmask_b32_e32 v35, 16, v1, vcc
	v_bfe_u32 v38, v34, 2, 4
	v_pk_mov_b32 v[20:21], 0, 0
	v_and_b32_e32 v33, 3, v34
	s_cmp_lt_i32 s33, 1
	v_cmp_lt_i32_e64 s[0:1], v38, v35
	v_mbcnt_lo_u32_b32 v39, -1, 0
	v_pk_mov_b32 v[22:23], v[20:21], v[20:21] op_sel:[0,1]
	v_pk_mov_b32 v[8:9], v[20:21], v[20:21] op_sel:[0,1]
	;; [unrolled: 1-line block ×7, first 2 shown]
	s_cbranch_scc1 .LBB14_28
; %bb.2:
	s_add_u32 s2, s24, s2
	s_addc_u32 s3, s25, s3
	s_load_dwordx2 s[6:7], s[2:3], 0x0
	s_load_dwordx2 s[30:31], s[4:5], 0x38
	s_load_dwordx4 s[36:39], s[4:5], 0x48
	s_load_dwordx2 s[40:41], s[4:5], 0x58
	s_lshl_b64 s[2:3], s[26:27], 4
	s_waitcnt lgkmcnt(0)
	s_add_u32 s6, s6, s2
	s_addc_u32 s7, s7, s3
	s_mul_i32 s2, s8, s13
	s_mul_hi_u32 s3, s8, s12
	s_add_i32 s2, s3, s2
	s_mul_i32 s3, s9, s12
	s_add_i32 s3, s2, s3
	s_mul_i32 s2, s8, s12
	s_lshl_b64 s[2:3], s[2:3], 4
	s_add_u32 s8, s36, s2
	s_addc_u32 s9, s37, s3
	s_lshl_b64 s[2:3], s[38:39], 4
	s_add_u32 s2, s8, s2
	s_addc_u32 s3, s9, s3
	s_cmpk_lg_i32 s28, 0x6f
	s_cselect_b64 s[24:25], -1, 0
	s_cmpk_eq_i32 s28, 0x6f
	s_cselect_b32 s8, s30, s31
	v_mul_lo_u32 v0, v36, s8
	v_ashrrev_i32_e32 v1, 31, v0
	s_cmpk_lg_i32 s29, 0x6f
	v_lshlrev_b64 v[0:1], 4, v[0:1]
	s_cselect_b64 s[26:27], -1, 0
	s_cmpk_eq_i32 s29, 0x6f
	v_add_co_u32_e32 v40, vcc, s6, v0
	s_cselect_b32 s6, s41, s40
	v_mov_b32_e32 v3, s7
	v_mul_lo_u32 v0, v37, s6
	v_addc_co_u32_e32 v41, vcc, v3, v1, vcc
	v_ashrrev_i32_e32 v1, 31, v0
	v_lshlrev_b64 v[0:1], 4, v[0:1]
	v_mov_b32_e32 v3, s3
	v_add_co_u32_e32 v42, vcc, s2, v0
	v_and_b32_e32 v2, 63, v34
	v_addc_co_u32_e32 v43, vcc, v3, v1, vcc
	v_and_b32_e32 v1, 15, v34
	v_lshrrev_b32_e32 v44, 4, v2
	v_mul_lo_u32 v0, v1, s30
	s_cmpk_eq_i32 s28, 0x71
	s_cselect_b64 s[10:11], -1, 0
	s_cmpk_eq_i32 s29, 0x71
	v_mad_u64_u32 v[24:25], s[28:29], s31, v44, v[0:1]
	v_mul_lo_u32 v0, s30, v33
	v_mad_u64_u32 v[26:27], s[28:29], v38, s31, v[0:1]
	v_mul_lo_u32 v0, s40, v33
	v_lshl_or_b32 v3, v1, 2, v44
	v_mad_u64_u32 v[28:29], s[28:29], v38, s41, v[0:1]
	v_mbcnt_hi_u32_b32 v0, -1, v39
	v_mul_lo_u32 v2, v1, s40
	v_pk_mov_b32 v[8:9], 0, 0
	v_and_or_b32 v0, v0, 64, v3
	v_cmp_lt_i32_e64 s[2:3], v38, v32
	v_cmp_lt_i32_e64 s[6:7], v1, v32
	;; [unrolled: 1-line block ×3, first 2 shown]
	s_cselect_b64 s[12:13], -1, 0
	s_lshl_b32 s38, s31, 2
	s_lshl_b32 s39, s30, 2
	;; [unrolled: 1-line block ×3, first 2 shown]
	v_mad_u64_u32 v[30:31], s[28:29], s41, v44, v[2:3]
	s_lshl_b32 s41, s41, 2
	s_mov_b32 s42, 0
	v_lshlrev_b32_e32 v45, 2, v0
	v_pk_mov_b32 v[12:13], v[8:9], v[8:9] op_sel:[0,1]
	v_pk_mov_b32 v[16:17], v[8:9], v[8:9] op_sel:[0,1]
	;; [unrolled: 1-line block ×7, first 2 shown]
	s_branch .LBB14_6
.LBB14_3:                               ;   in Loop: Header=BB14_6 Depth=1
	s_or_b64 exec, exec, s[30:31]
.LBB14_4:                               ;   in Loop: Header=BB14_6 Depth=1
	s_or_b64 exec, exec, s[28:29]
	s_waitcnt vmcnt(0)
	ds_bpermute_b32 v4, v45, v4
	ds_bpermute_b32 v5, v45, v5
	;; [unrolled: 1-line block ×4, first 2 shown]
.LBB14_5:                               ;   in Loop: Header=BB14_6 Depth=1
	s_waitcnt vmcnt(0) lgkmcnt(0)
	v_xor_b32_e32 v25, 0x80000000, v3
	v_cndmask_b32_e64 v3, v3, v25, s[10:11]
	v_cndmask_b32_e64 v2, v2, v2, s[10:11]
	v_xor_b32_e32 v25, 0x80000000, v7
	v_cndmask_b32_e64 v7, v7, v25, s[12:13]
	v_cndmask_b32_e64 v6, v6, v6, s[12:13]
	v_mfma_f64_16x16x4f64 v[46:53], v[0:1], v[4:5], 0
	s_add_i32 s42, s42, 4
	s_cmp_ge_i32 s42, s33
	v_add_u32_e32 v24, s38, v24
	v_add_u32_e32 v26, s39, v26
	;; [unrolled: 1-line block ×4, first 2 shown]
	v_mfma_f64_16x16x4f64 v[54:61], v[2:3], v[6:7], 0
	s_nop 7
	s_nop 2
	v_add_f64 v[60:61], v[52:53], -v[60:61]
	v_add_f64 v[58:59], v[50:51], -v[58:59]
	;; [unrolled: 1-line block ×4, first 2 shown]
	v_add_f64 v[20:21], v[20:21], v[54:55]
	v_add_f64 v[18:19], v[18:19], v[56:57]
	;; [unrolled: 1-line block ×4, first 2 shown]
	v_mfma_f64_16x16x4f64 v[46:53], v[0:1], v[6:7], 0
	v_mfma_f64_16x16x4f64 v[0:7], v[2:3], v[4:5], 0
	s_nop 7
	s_nop 2
	v_add_f64 v[6:7], v[52:53], v[6:7]
	v_add_f64 v[4:5], v[50:51], v[4:5]
	;; [unrolled: 1-line block ×8, first 2 shown]
	s_cbranch_scc1 .LBB14_28
.LBB14_6:                               ; =>This Inner Loop Header: Depth=1
	s_and_b64 vcc, exec, s[24:25]
	s_cbranch_vccz .LBB14_18
; %bb.7:                                ;   in Loop: Header=BB14_6 Depth=1
	v_pk_mov_b32 v[0:1], 0, 0
	s_mov_b64 s[28:29], 0
	v_pk_mov_b32 v[2:3], v[0:1], v[0:1] op_sel:[0,1]
	s_and_saveexec_b64 s[30:31], s[2:3]
	s_cbranch_execz .LBB14_11
; %bb.8:                                ;   in Loop: Header=BB14_6 Depth=1
	v_add_u32_e32 v0, s42, v33
	v_pk_mov_b32 v[2:3], 0, 0
	v_cmp_gt_i32_e32 vcc, s33, v0
	v_pk_mov_b32 v[0:1], v[2:3], v[2:3] op_sel:[0,1]
	s_and_saveexec_b64 s[36:37], vcc
	s_cbranch_execz .LBB14_10
; %bb.9:                                ;   in Loop: Header=BB14_6 Depth=1
	v_ashrrev_i32_e32 v27, 31, v26
	v_lshlrev_b64 v[0:1], 4, v[26:27]
	v_add_co_u32_e32 v0, vcc, v40, v0
	v_addc_co_u32_e32 v1, vcc, v41, v1, vcc
	global_load_dwordx4 v[0:3], v[0:1], off
.LBB14_10:                              ;   in Loop: Header=BB14_6 Depth=1
	s_or_b64 exec, exec, s[36:37]
.LBB14_11:                              ;   in Loop: Header=BB14_6 Depth=1
	s_or_b64 exec, exec, s[30:31]
	s_waitcnt vmcnt(0)
	ds_bpermute_b32 v0, v45, v0
	ds_bpermute_b32 v1, v45, v1
	;; [unrolled: 1-line block ×4, first 2 shown]
	s_and_b64 vcc, exec, s[28:29]
	s_cbranch_vccnz .LBB14_19
.LBB14_12:                              ;   in Loop: Header=BB14_6 Depth=1
	s_and_b64 vcc, exec, s[26:27]
	s_cbranch_vccz .LBB14_24
.LBB14_13:                              ;   in Loop: Header=BB14_6 Depth=1
	v_pk_mov_b32 v[6:7], 0, 0
	s_mov_b64 s[28:29], 0
	v_pk_mov_b32 v[4:5], v[6:7], v[6:7] op_sel:[0,1]
	s_and_saveexec_b64 s[30:31], s[8:9]
	s_cbranch_execz .LBB14_17
; %bb.14:                               ;   in Loop: Header=BB14_6 Depth=1
	v_add_u32_e32 v4, s42, v44
	v_pk_mov_b32 v[6:7], 0, 0
	v_cmp_gt_i32_e32 vcc, s33, v4
	v_pk_mov_b32 v[4:5], v[6:7], v[6:7] op_sel:[0,1]
	s_and_saveexec_b64 s[36:37], vcc
	s_cbranch_execz .LBB14_16
; %bb.15:                               ;   in Loop: Header=BB14_6 Depth=1
	v_ashrrev_i32_e32 v31, 31, v30
	v_lshlrev_b64 v[4:5], 4, v[30:31]
	v_add_co_u32_e32 v4, vcc, v42, v4
	v_addc_co_u32_e32 v5, vcc, v43, v5, vcc
	global_load_dwordx4 v[4:7], v[4:5], off
.LBB14_16:                              ;   in Loop: Header=BB14_6 Depth=1
	s_or_b64 exec, exec, s[36:37]
.LBB14_17:                              ;   in Loop: Header=BB14_6 Depth=1
	s_or_b64 exec, exec, s[30:31]
	s_andn2_b64 vcc, exec, s[28:29]
	s_cbranch_vccnz .LBB14_5
	s_branch .LBB14_25
.LBB14_18:                              ;   in Loop: Header=BB14_6 Depth=1
                                        ; implicit-def: $vgpr2_vgpr3
	s_cbranch_execz .LBB14_12
.LBB14_19:                              ;   in Loop: Header=BB14_6 Depth=1
	s_waitcnt lgkmcnt(0)
	v_pk_mov_b32 v[2:3], 0, 0
	v_pk_mov_b32 v[0:1], v[2:3], v[2:3] op_sel:[0,1]
	s_and_saveexec_b64 s[28:29], s[6:7]
	s_cbranch_execz .LBB14_23
; %bb.20:                               ;   in Loop: Header=BB14_6 Depth=1
	v_add_u32_e32 v0, s42, v44
	v_pk_mov_b32 v[2:3], 0, 0
	v_cmp_gt_i32_e32 vcc, s33, v0
	v_pk_mov_b32 v[0:1], v[2:3], v[2:3] op_sel:[0,1]
	s_and_saveexec_b64 s[30:31], vcc
	s_cbranch_execz .LBB14_22
; %bb.21:                               ;   in Loop: Header=BB14_6 Depth=1
	v_ashrrev_i32_e32 v25, 31, v24
	v_lshlrev_b64 v[0:1], 4, v[24:25]
	v_add_co_u32_e32 v0, vcc, v40, v0
	v_addc_co_u32_e32 v1, vcc, v41, v1, vcc
	global_load_dwordx4 v[0:3], v[0:1], off
.LBB14_22:                              ;   in Loop: Header=BB14_6 Depth=1
	s_or_b64 exec, exec, s[30:31]
.LBB14_23:                              ;   in Loop: Header=BB14_6 Depth=1
	s_or_b64 exec, exec, s[28:29]
	s_and_b64 vcc, exec, s[26:27]
	s_cbranch_vccnz .LBB14_13
.LBB14_24:                              ;   in Loop: Header=BB14_6 Depth=1
                                        ; implicit-def: $vgpr6_vgpr7
.LBB14_25:                              ;   in Loop: Header=BB14_6 Depth=1
	s_waitcnt vmcnt(0)
	v_pk_mov_b32 v[4:5], 0, 0
	v_pk_mov_b32 v[6:7], v[4:5], v[4:5] op_sel:[0,1]
	s_and_saveexec_b64 s[28:29], s[0:1]
	s_cbranch_execz .LBB14_4
; %bb.26:                               ;   in Loop: Header=BB14_6 Depth=1
	v_add_u32_e32 v4, s42, v33
	v_pk_mov_b32 v[6:7], 0, 0
	v_cmp_gt_i32_e32 vcc, s33, v4
	v_pk_mov_b32 v[4:5], v[6:7], v[6:7] op_sel:[0,1]
	s_and_saveexec_b64 s[30:31], vcc
	s_cbranch_execz .LBB14_3
; %bb.27:                               ;   in Loop: Header=BB14_6 Depth=1
	v_ashrrev_i32_e32 v29, 31, v28
	v_lshlrev_b64 v[4:5], 4, v[28:29]
	v_add_co_u32_e32 v4, vcc, v42, v4
	v_addc_co_u32_e32 v5, vcc, v43, v5, vcc
	global_load_dwordx4 v[4:7], v[4:5], off
	s_branch .LBB14_3
.LBB14_28:
	s_load_dwordx2 s[2:3], s[4:5], 0x88
	s_lshl_b64 s[0:1], s[34:35], 4
	s_waitcnt lgkmcnt(0)
	s_add_u32 s4, s18, s0
	s_addc_u32 s5, s19, s1
	v_mul_lo_u32 v0, v36, s2
	v_mad_u64_u32 v[0:1], s[0:1], v37, s3, v[0:1]
	v_ashrrev_i32_e32 v1, 31, v0
	v_lshlrev_b64 v[2:3], 4, v[0:1]
	v_mov_b32_e32 v0, s5
	v_add_co_u32_e32 v1, vcc, s4, v2
	v_addc_co_u32_e32 v6, vcc, v0, v3, vcc
	v_lshlrev_b32_e32 v0, 4, v34
	v_mbcnt_hi_u32_b32 v2, -1, v39
	v_and_b32_e32 v0, 48, v0
	v_and_b32_e32 v2, 64, v2
	v_or3_b32 v0, v0, v2, v38
	v_lshlrev_b32_e32 v7, 2, v0
	ds_bpermute_b32 v2, v7, v20
	ds_bpermute_b32 v3, v7, v21
	;; [unrolled: 1-line block ×4, first 2 shown]
	v_cmp_lt_i32_e32 vcc, v38, v35
	v_cmp_lt_i32_e64 s[0:1], v33, v32
	v_mul_lo_u32 v0, v38, s3
	s_and_b64 s[0:1], vcc, s[0:1]
	s_and_saveexec_b64 s[4:5], s[0:1]
	s_cbranch_execz .LBB14_30
; %bb.29:
	v_mad_u64_u32 v[20:21], s[0:1], v33, s2, v[0:1]
	v_ashrrev_i32_e32 v21, 31, v20
	v_lshlrev_b64 v[20:21], 4, v[20:21]
	v_add_co_u32_e64 v24, s[0:1], v1, v20
	v_addc_co_u32_e64 v25, s[0:1], v6, v21, s[0:1]
	global_load_dwordx4 v[20:23], v[24:25], off
	s_waitcnt lgkmcnt(0)
	v_mul_f64 v[26:27], s[22:23], v[4:5]
	v_mul_f64 v[4:5], s[20:21], v[4:5]
	v_fma_f64 v[26:27], s[20:21], v[2:3], -v[26:27]
	v_fmac_f64_e32 v[4:5], s[22:23], v[2:3]
	s_waitcnt vmcnt(0)
	v_mul_f64 v[2:3], s[16:17], v[22:23]
	v_mul_f64 v[22:23], s[14:15], v[22:23]
	v_fma_f64 v[2:3], s[14:15], v[20:21], -v[2:3]
	v_fmac_f64_e32 v[22:23], s[16:17], v[20:21]
	v_add_f64 v[2:3], v[26:27], v[2:3]
	v_add_f64 v[4:5], v[4:5], v[22:23]
	global_store_dwordx4 v[24:25], v[2:5], off
.LBB14_30:
	s_or_b64 exec, exec, s[4:5]
	s_waitcnt lgkmcnt(3)
	ds_bpermute_b32 v2, v7, v18
	s_waitcnt lgkmcnt(3)
	ds_bpermute_b32 v3, v7, v19
	s_waitcnt lgkmcnt(3)
	ds_bpermute_b32 v4, v7, v16
	s_waitcnt lgkmcnt(3)
	ds_bpermute_b32 v5, v7, v17
	v_or_b32_e32 v16, 4, v33
	v_cmp_lt_i32_e64 s[0:1], v16, v32
	s_and_b64 s[0:1], vcc, s[0:1]
	s_and_saveexec_b64 s[4:5], s[0:1]
	s_cbranch_execz .LBB14_32
; %bb.31:
	v_mad_u64_u32 v[16:17], s[0:1], v16, s2, v[0:1]
	v_ashrrev_i32_e32 v17, 31, v16
	v_lshlrev_b64 v[16:17], 4, v[16:17]
	v_add_co_u32_e64 v20, s[0:1], v1, v16
	v_addc_co_u32_e64 v21, s[0:1], v6, v17, s[0:1]
	global_load_dwordx4 v[16:19], v[20:21], off
	s_waitcnt lgkmcnt(0)
	v_mul_f64 v[22:23], s[22:23], v[4:5]
	v_mul_f64 v[4:5], s[20:21], v[4:5]
	v_fma_f64 v[22:23], s[20:21], v[2:3], -v[22:23]
	v_fmac_f64_e32 v[4:5], s[22:23], v[2:3]
	s_waitcnt vmcnt(0)
	v_mul_f64 v[2:3], s[16:17], v[18:19]
	v_mul_f64 v[18:19], s[14:15], v[18:19]
	v_fma_f64 v[2:3], s[14:15], v[16:17], -v[2:3]
	v_fmac_f64_e32 v[18:19], s[16:17], v[16:17]
	v_add_f64 v[2:3], v[22:23], v[2:3]
	v_add_f64 v[4:5], v[4:5], v[18:19]
	global_store_dwordx4 v[20:21], v[2:5], off
.LBB14_32:
	s_or_b64 exec, exec, s[4:5]
	s_waitcnt lgkmcnt(3)
	ds_bpermute_b32 v2, v7, v14
	s_waitcnt lgkmcnt(3)
	ds_bpermute_b32 v3, v7, v15
	s_waitcnt lgkmcnt(3)
	ds_bpermute_b32 v4, v7, v12
	s_waitcnt lgkmcnt(3)
	ds_bpermute_b32 v5, v7, v13
	v_or_b32_e32 v12, 8, v33
	v_cmp_lt_i32_e64 s[0:1], v12, v32
	;; [unrolled: 35-line block ×3, first 2 shown]
	s_and_b64 s[0:1], vcc, s[0:1]
	s_and_b64 exec, exec, s[0:1]
	s_cbranch_execz .LBB14_36
; %bb.35:
	v_mad_u64_u32 v[8:9], s[0:1], v7, s2, v[0:1]
	v_ashrrev_i32_e32 v9, 31, v8
	v_lshlrev_b64 v[8:9], 4, v[8:9]
	v_add_co_u32_e32 v10, vcc, v1, v8
	v_addc_co_u32_e32 v11, vcc, v6, v9, vcc
	global_load_dwordx4 v[6:9], v[10:11], off
	s_waitcnt lgkmcnt(0)
	v_mul_f64 v[0:1], s[22:23], v[4:5]
	v_mul_f64 v[4:5], s[20:21], v[4:5]
	v_fma_f64 v[0:1], s[20:21], v[2:3], -v[0:1]
	v_fmac_f64_e32 v[4:5], s[22:23], v[2:3]
	s_waitcnt vmcnt(0)
	v_mul_f64 v[2:3], s[16:17], v[8:9]
	v_mul_f64 v[8:9], s[14:15], v[8:9]
	v_fma_f64 v[2:3], s[14:15], v[6:7], -v[2:3]
	v_fmac_f64_e32 v[8:9], s[16:17], v[6:7]
	v_add_f64 v[0:1], v[0:1], v[2:3]
	v_add_f64 v[2:3], v[4:5], v[8:9]
	global_store_dwordx4 v[10:11], v[0:3], off
.LBB14_36:
	s_endpgm
	.section	.rodata,"a",@progbits
	.p2align	6, 0x0
	.amdhsa_kernel _ZN9rocsolver6v33100L16mfma_gemm_kernelI19rocblas_complex_numIdEiS3_PKPS3_S4_S6_EEv18rocblas_operation_S7_T0_S8_S8_T1_T2_lS8_S8_lT3_lS8_S8_lS9_T4_lS8_S8_l
		.amdhsa_group_segment_fixed_size 0
		.amdhsa_private_segment_fixed_size 0
		.amdhsa_kernarg_size 408
		.amdhsa_user_sgpr_count 6
		.amdhsa_user_sgpr_private_segment_buffer 1
		.amdhsa_user_sgpr_dispatch_ptr 0
		.amdhsa_user_sgpr_queue_ptr 0
		.amdhsa_user_sgpr_kernarg_segment_ptr 1
		.amdhsa_user_sgpr_dispatch_id 0
		.amdhsa_user_sgpr_flat_scratch_init 0
		.amdhsa_user_sgpr_kernarg_preload_length 0
		.amdhsa_user_sgpr_kernarg_preload_offset 0
		.amdhsa_user_sgpr_private_segment_size 0
		.amdhsa_uses_dynamic_stack 0
		.amdhsa_system_sgpr_private_segment_wavefront_offset 0
		.amdhsa_system_sgpr_workgroup_id_x 1
		.amdhsa_system_sgpr_workgroup_id_y 1
		.amdhsa_system_sgpr_workgroup_id_z 1
		.amdhsa_system_sgpr_workgroup_info 0
		.amdhsa_system_vgpr_workitem_id 1
		.amdhsa_next_free_vgpr 62
		.amdhsa_next_free_sgpr 43
		.amdhsa_accum_offset 64
		.amdhsa_reserve_vcc 1
		.amdhsa_reserve_flat_scratch 0
		.amdhsa_float_round_mode_32 0
		.amdhsa_float_round_mode_16_64 0
		.amdhsa_float_denorm_mode_32 3
		.amdhsa_float_denorm_mode_16_64 3
		.amdhsa_dx10_clamp 1
		.amdhsa_ieee_mode 1
		.amdhsa_fp16_overflow 0
		.amdhsa_tg_split 0
		.amdhsa_exception_fp_ieee_invalid_op 0
		.amdhsa_exception_fp_denorm_src 0
		.amdhsa_exception_fp_ieee_div_zero 0
		.amdhsa_exception_fp_ieee_overflow 0
		.amdhsa_exception_fp_ieee_underflow 0
		.amdhsa_exception_fp_ieee_inexact 0
		.amdhsa_exception_int_div_zero 0
	.end_amdhsa_kernel
	.section	.text._ZN9rocsolver6v33100L16mfma_gemm_kernelI19rocblas_complex_numIdEiS3_PKPS3_S4_S6_EEv18rocblas_operation_S7_T0_S8_S8_T1_T2_lS8_S8_lT3_lS8_S8_lS9_T4_lS8_S8_l,"axG",@progbits,_ZN9rocsolver6v33100L16mfma_gemm_kernelI19rocblas_complex_numIdEiS3_PKPS3_S4_S6_EEv18rocblas_operation_S7_T0_S8_S8_T1_T2_lS8_S8_lT3_lS8_S8_lS9_T4_lS8_S8_l,comdat
.Lfunc_end14:
	.size	_ZN9rocsolver6v33100L16mfma_gemm_kernelI19rocblas_complex_numIdEiS3_PKPS3_S4_S6_EEv18rocblas_operation_S7_T0_S8_S8_T1_T2_lS8_S8_lT3_lS8_S8_lS9_T4_lS8_S8_l, .Lfunc_end14-_ZN9rocsolver6v33100L16mfma_gemm_kernelI19rocblas_complex_numIdEiS3_PKPS3_S4_S6_EEv18rocblas_operation_S7_T0_S8_S8_T1_T2_lS8_S8_lT3_lS8_S8_lS9_T4_lS8_S8_l
                                        ; -- End function
	.section	.AMDGPU.csdata,"",@progbits
; Kernel info:
; codeLenInByte = 2440
; NumSgprs: 47
; NumVgprs: 62
; NumAgprs: 0
; TotalNumVgprs: 62
; ScratchSize: 0
; MemoryBound: 1
; FloatMode: 240
; IeeeMode: 1
; LDSByteSize: 0 bytes/workgroup (compile time only)
; SGPRBlocks: 5
; VGPRBlocks: 7
; NumSGPRsForWavesPerEU: 47
; NumVGPRsForWavesPerEU: 62
; AccumOffset: 64
; Occupancy: 8
; WaveLimiterHint : 1
; COMPUTE_PGM_RSRC2:SCRATCH_EN: 0
; COMPUTE_PGM_RSRC2:USER_SGPR: 6
; COMPUTE_PGM_RSRC2:TRAP_HANDLER: 0
; COMPUTE_PGM_RSRC2:TGID_X_EN: 1
; COMPUTE_PGM_RSRC2:TGID_Y_EN: 1
; COMPUTE_PGM_RSRC2:TGID_Z_EN: 1
; COMPUTE_PGM_RSRC2:TIDIG_COMP_CNT: 1
; COMPUTE_PGM_RSRC3_GFX90A:ACCUM_OFFSET: 15
; COMPUTE_PGM_RSRC3_GFX90A:TG_SPLIT: 0
	.section	.text._ZN9rocsolver6v33100L11gemm_kernelI19rocblas_complex_numIdEiPKS3_PKPS3_S6_S8_EEvT0_S9_S9_T1_bT2_lS9_S9_lbT3_lS9_S9_lSA_T4_lS9_S9_l,"axG",@progbits,_ZN9rocsolver6v33100L11gemm_kernelI19rocblas_complex_numIdEiPKS3_PKPS3_S6_S8_EEvT0_S9_S9_T1_bT2_lS9_S9_lbT3_lS9_S9_lSA_T4_lS9_S9_l,comdat
	.globl	_ZN9rocsolver6v33100L11gemm_kernelI19rocblas_complex_numIdEiPKS3_PKPS3_S6_S8_EEvT0_S9_S9_T1_bT2_lS9_S9_lbT3_lS9_S9_lSA_T4_lS9_S9_l ; -- Begin function _ZN9rocsolver6v33100L11gemm_kernelI19rocblas_complex_numIdEiPKS3_PKPS3_S6_S8_EEvT0_S9_S9_T1_bT2_lS9_S9_lbT3_lS9_S9_lSA_T4_lS9_S9_l
	.p2align	8
	.type	_ZN9rocsolver6v33100L11gemm_kernelI19rocblas_complex_numIdEiPKS3_PKPS3_S6_S8_EEvT0_S9_S9_T1_bT2_lS9_S9_lbT3_lS9_S9_lSA_T4_lS9_S9_l,@function
_ZN9rocsolver6v33100L11gemm_kernelI19rocblas_complex_numIdEiPKS3_PKPS3_S6_S8_EEvT0_S9_S9_T1_bT2_lS9_S9_lbT3_lS9_S9_lSA_T4_lS9_S9_l: ; @_ZN9rocsolver6v33100L11gemm_kernelI19rocblas_complex_numIdEiPKS3_PKPS3_S6_S8_EEvT0_S9_S9_T1_bT2_lS9_S9_lbT3_lS9_S9_lSA_T4_lS9_S9_l
; %bb.0:
	s_load_dword s0, s[4:5], 0x9c
	s_load_dwordx4 s[20:23], s[4:5], 0x0
	v_and_b32_e32 v1, 0x3ff, v0
	v_bfe_u32 v0, v0, 10, 10
	s_waitcnt lgkmcnt(0)
	s_lshr_b32 s1, s0, 16
	s_and_b32 s0, s0, 0xffff
	s_mul_i32 s6, s6, s0
	s_mul_i32 s7, s7, s1
	v_add_u32_e32 v8, s6, v1
	v_add_u32_e32 v9, s7, v0
	v_cmp_gt_i32_e32 vcc, s20, v8
	v_cmp_gt_i32_e64 s[0:1], s21, v9
	s_and_b64 s[0:1], vcc, s[0:1]
	s_and_saveexec_b64 s[2:3], s[0:1]
	s_cbranch_execz .LBB15_5
; %bb.1:
	s_load_dwordx8 s[12:19], s[4:5], 0x60
	s_load_dwordx2 s[20:21], s[4:5], 0x10
	s_ashr_i32 s9, s8, 31
	s_lshl_b64 s[0:1], s[8:9], 3
	v_pk_mov_b32 v[0:1], 0, 0
	s_waitcnt lgkmcnt(0)
	s_add_u32 s2, s16, s0
	s_addc_u32 s3, s17, s1
	s_load_dwordx2 s[6:7], s[2:3], 0x0
	s_cmp_lt_i32 s22, 1
	v_pk_mov_b32 v[2:3], v[0:1], v[0:1] op_sel:[0,1]
	s_cbranch_scc1 .LBB15_4
; %bb.2:
	s_load_dwordx4 s[28:31], s[4:5], 0x20
	s_load_dword s16, s[4:5], 0x18
	s_load_dwordx2 s[10:11], s[4:5], 0x30
	s_load_dword s23, s[4:5], 0x40
	s_waitcnt lgkmcnt(0)
	s_add_u32 s0, s28, s0
	s_addc_u32 s1, s29, s1
	s_load_dwordx2 s[2:3], s[0:1], 0x0
	s_bitcmp1_b32 s16, 0
	s_cselect_b64 vcc, -1, 0
	s_bitcmp1_b32 s23, 0
	s_cselect_b64 s[0:1], -1, 0
	v_mul_lo_u32 v0, v8, s10
	s_lshl_b64 s[28:29], s[30:31], 4
	v_ashrrev_i32_e32 v1, 31, v0
	s_waitcnt lgkmcnt(0)
	s_add_u32 s2, s2, s28
	v_lshlrev_b64 v[0:1], 4, v[0:1]
	s_addc_u32 s3, s3, s29
	v_mov_b32_e32 v3, s3
	v_add_co_u32_e64 v0, s[2:3], s2, v0
	v_addc_co_u32_e64 v1, s[2:3], v3, v1, s[2:3]
	v_add_co_u32_e64 v4, s[2:3], 8, v0
	v_addc_co_u32_e64 v5, s[2:3], 0, v1, s[2:3]
	s_load_dwordx4 s[24:27], s[4:5], 0x48
	s_load_dwordx2 s[16:17], s[4:5], 0x58
	s_ashr_i32 s3, s11, 31
	s_mov_b32 s2, s11
	s_lshl_b64 s[10:11], s[2:3], 4
	s_mul_i32 s2, s12, s9
	s_mul_hi_u32 s3, s12, s8
	s_add_i32 s2, s3, s2
	s_mul_i32 s3, s13, s8
	s_add_i32 s3, s2, s3
	s_mul_i32 s2, s12, s8
	s_lshl_b64 s[2:3], s[2:3], 4
	s_waitcnt lgkmcnt(0)
	s_lshl_b64 s[8:9], s[26:27], 4
	s_add_u32 s2, s2, s8
	v_mul_lo_u32 v2, v9, s17
	s_addc_u32 s3, s3, s9
	v_ashrrev_i32_e32 v3, 31, v2
	s_add_u32 s2, s24, s2
	v_lshlrev_b64 v[0:1], 4, v[2:3]
	s_addc_u32 s3, s25, s3
	v_mov_b32_e32 v2, s3
	v_add_co_u32_e64 v0, s[2:3], s2, v0
	v_addc_co_u32_e64 v1, s[2:3], v2, v1, s[2:3]
	v_add_co_u32_e64 v6, s[2:3], 8, v0
	s_ashr_i32 s17, s16, 31
	v_addc_co_u32_e64 v7, s[2:3], 0, v1, s[2:3]
	s_lshl_b64 s[8:9], s[16:17], 4
	v_pk_mov_b32 v[0:1], 0, 0
	v_mov_b32_e32 v10, s11
	v_mov_b32_e32 v11, s9
	v_pk_mov_b32 v[2:3], v[0:1], v[0:1] op_sel:[0,1]
.LBB15_3:                               ; =>This Inner Loop Header: Depth=1
	global_load_dwordx4 v[12:15], v[4:5], off offset:-8
	global_load_dwordx4 v[16:19], v[6:7], off offset:-8
	v_add_co_u32_e64 v4, s[2:3], s10, v4
	v_addc_co_u32_e64 v5, s[2:3], v5, v10, s[2:3]
	s_add_i32 s22, s22, -1
	v_add_co_u32_e64 v6, s[2:3], s8, v6
	v_addc_co_u32_e64 v7, s[2:3], v7, v11, s[2:3]
	s_cmp_eq_u32 s22, 0
	s_waitcnt vmcnt(1)
	v_xor_b32_e32 v20, 0x80000000, v15
	s_waitcnt vmcnt(0)
	v_xor_b32_e32 v21, 0x80000000, v19
	v_cndmask_b32_e32 v15, v15, v20, vcc
	v_cndmask_b32_e64 v19, v19, v21, s[0:1]
	v_mul_f64 v[20:21], v[14:15], v[18:19]
	v_mul_f64 v[14:15], v[14:15], v[16:17]
	v_fma_f64 v[16:17], v[12:13], v[16:17], -v[20:21]
	v_fmac_f64_e32 v[14:15], v[12:13], v[18:19]
	v_add_f64 v[2:3], v[2:3], v[16:17]
	v_add_f64 v[0:1], v[0:1], v[14:15]
	s_cbranch_scc0 .LBB15_3
.LBB15_4:
	s_load_dwordx4 s[8:11], s[20:21], 0x0
	s_load_dwordx4 s[0:3], s[14:15], 0x0
                                        ; kill: killed $sgpr20_sgpr21
                                        ; kill: killed $sgpr14_sgpr15
	s_nop 0
	s_load_dwordx2 s[4:5], s[4:5], 0x80
	s_lshl_b64 s[12:13], s[18:19], 4
	s_waitcnt lgkmcnt(0)
	s_add_u32 s6, s6, s12
	s_addc_u32 s7, s7, s13
	v_mov_b32_e32 v6, s7
	v_mul_lo_u32 v4, v8, s4
	v_mad_u64_u32 v[4:5], s[4:5], v9, s5, v[4:5]
	v_ashrrev_i32_e32 v5, 31, v4
	v_lshlrev_b64 v[4:5], 4, v[4:5]
	v_add_co_u32_e32 v8, vcc, s6, v4
	v_addc_co_u32_e32 v9, vcc, v6, v5, vcc
	global_load_dwordx4 v[4:7], v[8:9], off
	v_mul_f64 v[10:11], s[10:11], v[0:1]
	v_mul_f64 v[12:13], s[8:9], v[0:1]
	v_fma_f64 v[0:1], s[8:9], v[2:3], -v[10:11]
	v_fmac_f64_e32 v[12:13], s[10:11], v[2:3]
	s_waitcnt vmcnt(0)
	v_mul_f64 v[2:3], s[2:3], v[6:7]
	v_mul_f64 v[6:7], s[0:1], v[6:7]
	v_fma_f64 v[2:3], s[0:1], v[4:5], -v[2:3]
	v_fmac_f64_e32 v[6:7], s[2:3], v[4:5]
	v_add_f64 v[0:1], v[0:1], v[2:3]
	v_add_f64 v[2:3], v[12:13], v[6:7]
	global_store_dwordx4 v[8:9], v[0:3], off
.LBB15_5:
	s_endpgm
	.section	.rodata,"a",@progbits
	.p2align	6, 0x0
	.amdhsa_kernel _ZN9rocsolver6v33100L11gemm_kernelI19rocblas_complex_numIdEiPKS3_PKPS3_S6_S8_EEvT0_S9_S9_T1_bT2_lS9_S9_lbT3_lS9_S9_lSA_T4_lS9_S9_l
		.amdhsa_group_segment_fixed_size 0
		.amdhsa_private_segment_fixed_size 0
		.amdhsa_kernarg_size 400
		.amdhsa_user_sgpr_count 6
		.amdhsa_user_sgpr_private_segment_buffer 1
		.amdhsa_user_sgpr_dispatch_ptr 0
		.amdhsa_user_sgpr_queue_ptr 0
		.amdhsa_user_sgpr_kernarg_segment_ptr 1
		.amdhsa_user_sgpr_dispatch_id 0
		.amdhsa_user_sgpr_flat_scratch_init 0
		.amdhsa_user_sgpr_kernarg_preload_length 0
		.amdhsa_user_sgpr_kernarg_preload_offset 0
		.amdhsa_user_sgpr_private_segment_size 0
		.amdhsa_uses_dynamic_stack 0
		.amdhsa_system_sgpr_private_segment_wavefront_offset 0
		.amdhsa_system_sgpr_workgroup_id_x 1
		.amdhsa_system_sgpr_workgroup_id_y 1
		.amdhsa_system_sgpr_workgroup_id_z 1
		.amdhsa_system_sgpr_workgroup_info 0
		.amdhsa_system_vgpr_workitem_id 1
		.amdhsa_next_free_vgpr 22
		.amdhsa_next_free_sgpr 32
		.amdhsa_accum_offset 24
		.amdhsa_reserve_vcc 1
		.amdhsa_reserve_flat_scratch 0
		.amdhsa_float_round_mode_32 0
		.amdhsa_float_round_mode_16_64 0
		.amdhsa_float_denorm_mode_32 3
		.amdhsa_float_denorm_mode_16_64 3
		.amdhsa_dx10_clamp 1
		.amdhsa_ieee_mode 1
		.amdhsa_fp16_overflow 0
		.amdhsa_tg_split 0
		.amdhsa_exception_fp_ieee_invalid_op 0
		.amdhsa_exception_fp_denorm_src 0
		.amdhsa_exception_fp_ieee_div_zero 0
		.amdhsa_exception_fp_ieee_overflow 0
		.amdhsa_exception_fp_ieee_underflow 0
		.amdhsa_exception_fp_ieee_inexact 0
		.amdhsa_exception_int_div_zero 0
	.end_amdhsa_kernel
	.section	.text._ZN9rocsolver6v33100L11gemm_kernelI19rocblas_complex_numIdEiPKS3_PKPS3_S6_S8_EEvT0_S9_S9_T1_bT2_lS9_S9_lbT3_lS9_S9_lSA_T4_lS9_S9_l,"axG",@progbits,_ZN9rocsolver6v33100L11gemm_kernelI19rocblas_complex_numIdEiPKS3_PKPS3_S6_S8_EEvT0_S9_S9_T1_bT2_lS9_S9_lbT3_lS9_S9_lSA_T4_lS9_S9_l,comdat
.Lfunc_end15:
	.size	_ZN9rocsolver6v33100L11gemm_kernelI19rocblas_complex_numIdEiPKS3_PKPS3_S6_S8_EEvT0_S9_S9_T1_bT2_lS9_S9_lbT3_lS9_S9_lSA_T4_lS9_S9_l, .Lfunc_end15-_ZN9rocsolver6v33100L11gemm_kernelI19rocblas_complex_numIdEiPKS3_PKPS3_S6_S8_EEvT0_S9_S9_T1_bT2_lS9_S9_lbT3_lS9_S9_lSA_T4_lS9_S9_l
                                        ; -- End function
	.section	.AMDGPU.csdata,"",@progbits
; Kernel info:
; codeLenInByte = 784
; NumSgprs: 36
; NumVgprs: 22
; NumAgprs: 0
; TotalNumVgprs: 22
; ScratchSize: 0
; MemoryBound: 0
; FloatMode: 240
; IeeeMode: 1
; LDSByteSize: 0 bytes/workgroup (compile time only)
; SGPRBlocks: 4
; VGPRBlocks: 2
; NumSGPRsForWavesPerEU: 36
; NumVGPRsForWavesPerEU: 22
; AccumOffset: 24
; Occupancy: 8
; WaveLimiterHint : 1
; COMPUTE_PGM_RSRC2:SCRATCH_EN: 0
; COMPUTE_PGM_RSRC2:USER_SGPR: 6
; COMPUTE_PGM_RSRC2:TRAP_HANDLER: 0
; COMPUTE_PGM_RSRC2:TGID_X_EN: 1
; COMPUTE_PGM_RSRC2:TGID_Y_EN: 1
; COMPUTE_PGM_RSRC2:TGID_Z_EN: 1
; COMPUTE_PGM_RSRC2:TIDIG_COMP_CNT: 1
; COMPUTE_PGM_RSRC3_GFX90A:ACCUM_OFFSET: 5
; COMPUTE_PGM_RSRC3_GFX90A:TG_SPLIT: 0
	.section	.text._ZN9rocsolver6v33100L11gemm_kernelI19rocblas_complex_numIdEiS3_PKPS3_S4_S6_EEvT0_S7_S7_T1_bT2_lS7_S7_lbT3_lS7_S7_lS8_T4_lS7_S7_l,"axG",@progbits,_ZN9rocsolver6v33100L11gemm_kernelI19rocblas_complex_numIdEiS3_PKPS3_S4_S6_EEvT0_S7_S7_T1_bT2_lS7_S7_lbT3_lS7_S7_lS8_T4_lS7_S7_l,comdat
	.globl	_ZN9rocsolver6v33100L11gemm_kernelI19rocblas_complex_numIdEiS3_PKPS3_S4_S6_EEvT0_S7_S7_T1_bT2_lS7_S7_lbT3_lS7_S7_lS8_T4_lS7_S7_l ; -- Begin function _ZN9rocsolver6v33100L11gemm_kernelI19rocblas_complex_numIdEiS3_PKPS3_S4_S6_EEvT0_S7_S7_T1_bT2_lS7_S7_lbT3_lS7_S7_lS8_T4_lS7_S7_l
	.p2align	8
	.type	_ZN9rocsolver6v33100L11gemm_kernelI19rocblas_complex_numIdEiS3_PKPS3_S4_S6_EEvT0_S7_S7_T1_bT2_lS7_S7_lbT3_lS7_S7_lS8_T4_lS7_S7_l,@function
_ZN9rocsolver6v33100L11gemm_kernelI19rocblas_complex_numIdEiS3_PKPS3_S4_S6_EEvT0_S7_S7_T1_bT2_lS7_S7_lbT3_lS7_S7_lS8_T4_lS7_S7_l: ; @_ZN9rocsolver6v33100L11gemm_kernelI19rocblas_complex_numIdEiS3_PKPS3_S4_S6_EEvT0_S7_S7_T1_bT2_lS7_S7_lbT3_lS7_S7_lS8_T4_lS7_S7_l
; %bb.0:
	s_load_dword s0, s[4:5], 0xac
	s_load_dwordx4 s[20:23], s[4:5], 0x0
	v_and_b32_e32 v1, 0x3ff, v0
	v_bfe_u32 v0, v0, 10, 10
	s_waitcnt lgkmcnt(0)
	s_lshr_b32 s1, s0, 16
	s_and_b32 s0, s0, 0xffff
	s_mul_i32 s6, s6, s0
	s_mul_i32 s7, s7, s1
	v_add_u32_e32 v8, s6, v1
	v_add_u32_e32 v9, s7, v0
	v_cmp_gt_i32_e32 vcc, s20, v8
	v_cmp_gt_i32_e64 s[0:1], s21, v9
	s_and_b64 s[0:1], vcc, s[0:1]
	s_and_saveexec_b64 s[2:3], s[0:1]
	s_cbranch_execz .LBB16_5
; %bb.1:
	s_load_dwordx8 s[12:19], s[4:5], 0x68
	s_load_dwordx2 s[6:7], s[4:5], 0x88
	s_ashr_i32 s9, s8, 31
	s_lshl_b64 s[0:1], s[8:9], 3
	v_pk_mov_b32 v[0:1], 0, 0
	s_waitcnt lgkmcnt(0)
	s_add_u32 s2, s18, s0
	s_addc_u32 s3, s19, s1
	s_load_dwordx2 s[10:11], s[2:3], 0x0
	s_cmp_lt_i32 s22, 1
	v_pk_mov_b32 v[2:3], v[0:1], v[0:1] op_sel:[0,1]
	s_cbranch_scc1 .LBB16_4
; %bb.2:
	s_load_dwordx4 s[28:31], s[4:5], 0x28
	s_load_dword s20, s[4:5], 0x20
	s_load_dwordx2 s[18:19], s[4:5], 0x38
	s_load_dword s23, s[4:5], 0x48
	s_waitcnt lgkmcnt(0)
	s_add_u32 s0, s28, s0
	s_addc_u32 s1, s29, s1
	s_load_dwordx2 s[2:3], s[0:1], 0x0
	s_bitcmp1_b32 s20, 0
	s_cselect_b64 vcc, -1, 0
	s_bitcmp1_b32 s23, 0
	s_cselect_b64 s[0:1], -1, 0
	v_mul_lo_u32 v0, v8, s18
	s_lshl_b64 s[28:29], s[30:31], 4
	v_ashrrev_i32_e32 v1, 31, v0
	s_waitcnt lgkmcnt(0)
	s_add_u32 s2, s2, s28
	v_lshlrev_b64 v[0:1], 4, v[0:1]
	s_addc_u32 s3, s3, s29
	v_mov_b32_e32 v3, s3
	v_add_co_u32_e64 v0, s[2:3], s2, v0
	v_addc_co_u32_e64 v1, s[2:3], v3, v1, s[2:3]
	v_add_co_u32_e64 v4, s[2:3], 8, v0
	v_addc_co_u32_e64 v5, s[2:3], 0, v1, s[2:3]
	s_load_dwordx4 s[24:27], s[4:5], 0x50
	s_load_dwordx2 s[20:21], s[4:5], 0x60
	s_ashr_i32 s3, s19, 31
	s_mov_b32 s2, s19
	s_lshl_b64 s[18:19], s[2:3], 4
	s_mul_i32 s2, s12, s9
	s_mul_hi_u32 s3, s12, s8
	s_add_i32 s2, s3, s2
	s_mul_i32 s3, s13, s8
	s_add_i32 s3, s2, s3
	s_mul_i32 s2, s12, s8
	s_lshl_b64 s[2:3], s[2:3], 4
	s_waitcnt lgkmcnt(0)
	s_lshl_b64 s[8:9], s[26:27], 4
	s_add_u32 s2, s2, s8
	v_mul_lo_u32 v2, v9, s21
	s_addc_u32 s3, s3, s9
	v_ashrrev_i32_e32 v3, 31, v2
	s_add_u32 s2, s24, s2
	v_lshlrev_b64 v[0:1], 4, v[2:3]
	s_addc_u32 s3, s25, s3
	v_mov_b32_e32 v2, s3
	v_add_co_u32_e64 v0, s[2:3], s2, v0
	v_addc_co_u32_e64 v1, s[2:3], v2, v1, s[2:3]
	v_add_co_u32_e64 v6, s[2:3], 8, v0
	s_ashr_i32 s21, s20, 31
	v_addc_co_u32_e64 v7, s[2:3], 0, v1, s[2:3]
	s_lshl_b64 s[8:9], s[20:21], 4
	v_pk_mov_b32 v[0:1], 0, 0
	v_mov_b32_e32 v10, s19
	v_mov_b32_e32 v11, s9
	v_pk_mov_b32 v[2:3], v[0:1], v[0:1] op_sel:[0,1]
.LBB16_3:                               ; =>This Inner Loop Header: Depth=1
	global_load_dwordx4 v[12:15], v[4:5], off offset:-8
	global_load_dwordx4 v[16:19], v[6:7], off offset:-8
	v_add_co_u32_e64 v4, s[2:3], s18, v4
	v_addc_co_u32_e64 v5, s[2:3], v5, v10, s[2:3]
	s_add_i32 s22, s22, -1
	v_add_co_u32_e64 v6, s[2:3], s8, v6
	v_addc_co_u32_e64 v7, s[2:3], v7, v11, s[2:3]
	s_cmp_eq_u32 s22, 0
	s_waitcnt vmcnt(1)
	v_xor_b32_e32 v20, 0x80000000, v15
	s_waitcnt vmcnt(0)
	v_xor_b32_e32 v21, 0x80000000, v19
	v_cndmask_b32_e32 v15, v15, v20, vcc
	v_cndmask_b32_e64 v19, v19, v21, s[0:1]
	v_mul_f64 v[20:21], v[14:15], v[18:19]
	v_mul_f64 v[14:15], v[14:15], v[16:17]
	v_fma_f64 v[16:17], v[12:13], v[16:17], -v[20:21]
	v_fmac_f64_e32 v[14:15], v[12:13], v[18:19]
	v_add_f64 v[2:3], v[2:3], v[16:17]
	v_add_f64 v[0:1], v[0:1], v[14:15]
	s_cbranch_scc0 .LBB16_3
.LBB16_4:
	s_load_dwordx4 s[0:3], s[4:5], 0x10
	s_nop 0
	s_load_dwordx2 s[4:5], s[4:5], 0x90
	s_lshl_b64 s[6:7], s[6:7], 4
	s_waitcnt lgkmcnt(0)
	s_add_u32 s6, s10, s6
	s_addc_u32 s7, s11, s7
	v_mov_b32_e32 v6, s7
	v_mul_lo_u32 v4, v8, s4
	v_mad_u64_u32 v[4:5], s[4:5], v9, s5, v[4:5]
	v_ashrrev_i32_e32 v5, 31, v4
	v_lshlrev_b64 v[4:5], 4, v[4:5]
	v_add_co_u32_e32 v8, vcc, s6, v4
	v_addc_co_u32_e32 v9, vcc, v6, v5, vcc
	global_load_dwordx4 v[4:7], v[8:9], off
	v_mul_f64 v[10:11], s[2:3], v[0:1]
	v_mul_f64 v[12:13], s[0:1], v[0:1]
	v_fma_f64 v[0:1], s[0:1], v[2:3], -v[10:11]
	v_fmac_f64_e32 v[12:13], s[2:3], v[2:3]
	s_waitcnt vmcnt(0)
	v_mul_f64 v[2:3], s[16:17], v[6:7]
	v_mul_f64 v[6:7], s[14:15], v[6:7]
	v_fma_f64 v[2:3], s[14:15], v[4:5], -v[2:3]
	v_fmac_f64_e32 v[6:7], s[16:17], v[4:5]
	v_add_f64 v[0:1], v[0:1], v[2:3]
	v_add_f64 v[2:3], v[12:13], v[6:7]
	global_store_dwordx4 v[8:9], v[0:3], off
.LBB16_5:
	s_endpgm
	.section	.rodata,"a",@progbits
	.p2align	6, 0x0
	.amdhsa_kernel _ZN9rocsolver6v33100L11gemm_kernelI19rocblas_complex_numIdEiS3_PKPS3_S4_S6_EEvT0_S7_S7_T1_bT2_lS7_S7_lbT3_lS7_S7_lS8_T4_lS7_S7_l
		.amdhsa_group_segment_fixed_size 0
		.amdhsa_private_segment_fixed_size 0
		.amdhsa_kernarg_size 416
		.amdhsa_user_sgpr_count 6
		.amdhsa_user_sgpr_private_segment_buffer 1
		.amdhsa_user_sgpr_dispatch_ptr 0
		.amdhsa_user_sgpr_queue_ptr 0
		.amdhsa_user_sgpr_kernarg_segment_ptr 1
		.amdhsa_user_sgpr_dispatch_id 0
		.amdhsa_user_sgpr_flat_scratch_init 0
		.amdhsa_user_sgpr_kernarg_preload_length 0
		.amdhsa_user_sgpr_kernarg_preload_offset 0
		.amdhsa_user_sgpr_private_segment_size 0
		.amdhsa_uses_dynamic_stack 0
		.amdhsa_system_sgpr_private_segment_wavefront_offset 0
		.amdhsa_system_sgpr_workgroup_id_x 1
		.amdhsa_system_sgpr_workgroup_id_y 1
		.amdhsa_system_sgpr_workgroup_id_z 1
		.amdhsa_system_sgpr_workgroup_info 0
		.amdhsa_system_vgpr_workitem_id 1
		.amdhsa_next_free_vgpr 22
		.amdhsa_next_free_sgpr 32
		.amdhsa_accum_offset 24
		.amdhsa_reserve_vcc 1
		.amdhsa_reserve_flat_scratch 0
		.amdhsa_float_round_mode_32 0
		.amdhsa_float_round_mode_16_64 0
		.amdhsa_float_denorm_mode_32 3
		.amdhsa_float_denorm_mode_16_64 3
		.amdhsa_dx10_clamp 1
		.amdhsa_ieee_mode 1
		.amdhsa_fp16_overflow 0
		.amdhsa_tg_split 0
		.amdhsa_exception_fp_ieee_invalid_op 0
		.amdhsa_exception_fp_denorm_src 0
		.amdhsa_exception_fp_ieee_div_zero 0
		.amdhsa_exception_fp_ieee_overflow 0
		.amdhsa_exception_fp_ieee_underflow 0
		.amdhsa_exception_fp_ieee_inexact 0
		.amdhsa_exception_int_div_zero 0
	.end_amdhsa_kernel
	.section	.text._ZN9rocsolver6v33100L11gemm_kernelI19rocblas_complex_numIdEiS3_PKPS3_S4_S6_EEvT0_S7_S7_T1_bT2_lS7_S7_lbT3_lS7_S7_lS8_T4_lS7_S7_l,"axG",@progbits,_ZN9rocsolver6v33100L11gemm_kernelI19rocblas_complex_numIdEiS3_PKPS3_S4_S6_EEvT0_S7_S7_T1_bT2_lS7_S7_lbT3_lS7_S7_lS8_T4_lS7_S7_l,comdat
.Lfunc_end16:
	.size	_ZN9rocsolver6v33100L11gemm_kernelI19rocblas_complex_numIdEiS3_PKPS3_S4_S6_EEvT0_S7_S7_T1_bT2_lS7_S7_lbT3_lS7_S7_lS8_T4_lS7_S7_l, .Lfunc_end16-_ZN9rocsolver6v33100L11gemm_kernelI19rocblas_complex_numIdEiS3_PKPS3_S4_S6_EEvT0_S7_S7_T1_bT2_lS7_S7_lbT3_lS7_S7_lS8_T4_lS7_S7_l
                                        ; -- End function
	.section	.AMDGPU.csdata,"",@progbits
; Kernel info:
; codeLenInByte = 776
; NumSgprs: 36
; NumVgprs: 22
; NumAgprs: 0
; TotalNumVgprs: 22
; ScratchSize: 0
; MemoryBound: 0
; FloatMode: 240
; IeeeMode: 1
; LDSByteSize: 0 bytes/workgroup (compile time only)
; SGPRBlocks: 4
; VGPRBlocks: 2
; NumSGPRsForWavesPerEU: 36
; NumVGPRsForWavesPerEU: 22
; AccumOffset: 24
; Occupancy: 8
; WaveLimiterHint : 1
; COMPUTE_PGM_RSRC2:SCRATCH_EN: 0
; COMPUTE_PGM_RSRC2:USER_SGPR: 6
; COMPUTE_PGM_RSRC2:TRAP_HANDLER: 0
; COMPUTE_PGM_RSRC2:TGID_X_EN: 1
; COMPUTE_PGM_RSRC2:TGID_Y_EN: 1
; COMPUTE_PGM_RSRC2:TGID_Z_EN: 1
; COMPUTE_PGM_RSRC2:TIDIG_COMP_CNT: 1
; COMPUTE_PGM_RSRC3_GFX90A:ACCUM_OFFSET: 5
; COMPUTE_PGM_RSRC3_GFX90A:TG_SPLIT: 0
	.section	.text._ZN9rocsolver6v33100L16mfma_gemm_kernelI19rocblas_complex_numIdEiPKS3_PKPS3_S8_S6_EEv18rocblas_operation_S9_T0_SA_SA_T1_T2_lSA_SA_lT3_lSA_SA_lSB_T4_lSA_SA_l,"axG",@progbits,_ZN9rocsolver6v33100L16mfma_gemm_kernelI19rocblas_complex_numIdEiPKS3_PKPS3_S8_S6_EEv18rocblas_operation_S9_T0_SA_SA_T1_T2_lSA_SA_lT3_lSA_SA_lSB_T4_lSA_SA_l,comdat
	.globl	_ZN9rocsolver6v33100L16mfma_gemm_kernelI19rocblas_complex_numIdEiPKS3_PKPS3_S8_S6_EEv18rocblas_operation_S9_T0_SA_SA_T1_T2_lSA_SA_lT3_lSA_SA_lSB_T4_lSA_SA_l ; -- Begin function _ZN9rocsolver6v33100L16mfma_gemm_kernelI19rocblas_complex_numIdEiPKS3_PKPS3_S8_S6_EEv18rocblas_operation_S9_T0_SA_SA_T1_T2_lSA_SA_lT3_lSA_SA_lSB_T4_lSA_SA_l
	.p2align	8
	.type	_ZN9rocsolver6v33100L16mfma_gemm_kernelI19rocblas_complex_numIdEiPKS3_PKPS3_S8_S6_EEv18rocblas_operation_S9_T0_SA_SA_T1_T2_lSA_SA_lT3_lSA_SA_lSB_T4_lSA_SA_l,@function
_ZN9rocsolver6v33100L16mfma_gemm_kernelI19rocblas_complex_numIdEiPKS3_PKPS3_S8_S6_EEv18rocblas_operation_S9_T0_SA_SA_T1_T2_lSA_SA_lT3_lSA_SA_lSB_T4_lSA_SA_l: ; @_ZN9rocsolver6v33100L16mfma_gemm_kernelI19rocblas_complex_numIdEiPKS3_PKPS3_S8_S6_EEv18rocblas_operation_S9_T0_SA_SA_T1_T2_lSA_SA_lT3_lSA_SA_lSB_T4_lSA_SA_l
; %bb.0:
	s_load_dword s0, s[4:5], 0x94
	s_load_dwordx4 s[28:31], s[4:5], 0x0
	v_and_b32_e32 v34, 0x3ff, v0
	v_bfe_u32 v0, v0, 10, 10
	v_lshrrev_b32_e32 v1, 6, v34
	s_waitcnt lgkmcnt(0)
	s_lshr_b32 s1, s0, 16
	s_bfe_u32 s0, s0, 0xa0006
	s_mul_i32 s7, s7, s1
	s_mul_i32 s6, s6, s0
	v_add_u32_e32 v0, s7, v0
	v_add_lshl_u32 v35, s6, v1, 4
	v_lshlrev_b32_e32 v36, 4, v0
	v_cmp_gt_i32_e32 vcc, s30, v35
	v_cmp_gt_i32_e64 s[0:1], s31, v36
	s_and_b64 s[0:1], vcc, s[0:1]
	s_and_saveexec_b64 s[2:3], s[0:1]
	s_cbranch_execz .LBB17_36
; %bb.1:
	s_ashr_i32 s6, s30, 31
	s_lshr_b32 s6, s6, 28
	s_add_i32 s6, s30, s6
	s_load_dword s33, s[4:5], 0x10
	s_load_dwordx4 s[0:3], s[4:5], 0x18
	s_load_dwordx2 s[34:35], s[4:5], 0x70
	s_load_dwordx4 s[24:27], s[4:5], 0x60
	s_and_b32 s6, s6, -16
	s_sub_i32 s6, s30, s6
	v_mov_b32_e32 v1, s6
	s_ashr_i32 s6, s31, 31
	s_lshr_b32 s6, s6, 28
	s_add_i32 s6, s31, s6
	v_add_u32_e32 v0, 16, v35
	s_and_b32 s6, s6, -16
	s_waitcnt lgkmcnt(0)
	s_load_dwordx4 s[20:23], s[0:1], 0x0
	s_load_dwordx4 s[16:19], s[24:25], 0x0
	v_cmp_lt_i32_e32 vcc, s30, v0
	v_add_u32_e32 v0, 16, v36
	s_sub_i32 s6, s31, s6
	v_cndmask_b32_e32 v32, 16, v1, vcc
	v_mov_b32_e32 v1, s6
	v_cmp_lt_i32_e32 vcc, s31, v0
	v_cndmask_b32_e32 v37, 16, v1, vcc
	s_ashr_i32 s9, s8, 31
	v_bfe_u32 v38, v34, 2, 4
	v_pk_mov_b32 v[20:21], 0, 0
	v_and_b32_e32 v33, 3, v34
	s_cmp_lt_i32 s33, 1
	v_cmp_lt_i32_e64 s[0:1], v38, v37
	v_mbcnt_lo_u32_b32 v39, -1, 0
	v_pk_mov_b32 v[22:23], v[20:21], v[20:21] op_sel:[0,1]
	v_pk_mov_b32 v[8:9], v[20:21], v[20:21] op_sel:[0,1]
	;; [unrolled: 1-line block ×7, first 2 shown]
	s_cbranch_scc1 .LBB17_28
; %bb.2:
	s_lshl_b64 s[6:7], s[8:9], 3
	s_add_u32 s2, s2, s6
	s_addc_u32 s3, s3, s7
	s_load_dwordx4 s[36:39], s[4:5], 0x28
	s_load_dwordx2 s[10:11], s[2:3], 0x0
	s_load_dwordx4 s[12:15], s[4:5], 0x40
	v_and_b32_e32 v2, 63, v34
	v_lshrrev_b32_e32 v44, 4, v2
	s_waitcnt lgkmcnt(0)
	s_lshl_b64 s[2:3], s[36:37], 4
	s_add_u32 s10, s10, s2
	s_addc_u32 s11, s11, s3
	s_add_u32 s2, s12, s6
	s_addc_u32 s3, s13, s7
	s_load_dwordx2 s[2:3], s[2:3], 0x0
	s_lshl_b64 s[6:7], s[14:15], 4
	s_load_dwordx2 s[36:37], s[4:5], 0x50
	v_mov_b32_e32 v3, s11
	v_pk_mov_b32 v[8:9], 0, 0
	s_waitcnt lgkmcnt(0)
	s_add_u32 s2, s2, s6
	s_addc_u32 s3, s3, s7
	s_cmpk_lg_i32 s28, 0x6f
	s_cselect_b64 s[24:25], -1, 0
	s_cmpk_eq_i32 s28, 0x6f
	s_cselect_b32 s6, s38, s39
	v_mul_lo_u32 v0, v35, s6
	s_cmpk_lg_i32 s29, 0x6f
	v_ashrrev_i32_e32 v1, 31, v0
	s_cselect_b64 s[30:31], -1, 0
	s_cmpk_eq_i32 s29, 0x6f
	v_lshlrev_b64 v[0:1], 4, v[0:1]
	s_cselect_b32 s6, s37, s36
	v_add_co_u32_e32 v40, vcc, s10, v0
	v_mul_lo_u32 v0, v36, s6
	v_addc_co_u32_e32 v41, vcc, v3, v1, vcc
	v_ashrrev_i32_e32 v1, 31, v0
	v_lshlrev_b64 v[0:1], 4, v[0:1]
	v_mov_b32_e32 v3, s3
	v_add_co_u32_e32 v42, vcc, s2, v0
	v_addc_co_u32_e32 v43, vcc, v3, v1, vcc
	v_and_b32_e32 v1, 15, v34
	v_mul_lo_u32 v0, v1, s38
	s_cmpk_eq_i32 s28, 0x71
	s_cselect_b64 s[12:13], -1, 0
	s_cmpk_eq_i32 s29, 0x71
	v_mad_u64_u32 v[24:25], s[28:29], s39, v44, v[0:1]
	v_mul_lo_u32 v0, s38, v33
	v_mad_u64_u32 v[26:27], s[28:29], v38, s39, v[0:1]
	v_mul_lo_u32 v0, s36, v33
	v_lshl_or_b32 v3, v1, 2, v44
	v_mad_u64_u32 v[28:29], s[28:29], v38, s37, v[0:1]
	v_mbcnt_hi_u32_b32 v0, -1, v39
	v_mul_lo_u32 v2, v1, s36
	v_and_or_b32 v0, v0, 64, v3
	v_cmp_lt_i32_e64 s[2:3], v38, v32
	v_cmp_lt_i32_e64 s[6:7], v1, v32
	;; [unrolled: 1-line block ×3, first 2 shown]
	s_cselect_b64 s[14:15], -1, 0
	s_lshl_b32 s40, s39, 2
	s_lshl_b32 s41, s38, 2
	;; [unrolled: 1-line block ×3, first 2 shown]
	v_mad_u64_u32 v[30:31], s[28:29], s37, v44, v[2:3]
	s_lshl_b32 s43, s37, 2
	s_mov_b32 s44, 0
	v_lshlrev_b32_e32 v45, 2, v0
	v_pk_mov_b32 v[12:13], v[8:9], v[8:9] op_sel:[0,1]
	v_pk_mov_b32 v[16:17], v[8:9], v[8:9] op_sel:[0,1]
	v_pk_mov_b32 v[10:11], v[8:9], v[8:9] op_sel:[0,1]
	v_pk_mov_b32 v[14:15], v[8:9], v[8:9] op_sel:[0,1]
	v_pk_mov_b32 v[18:19], v[8:9], v[8:9] op_sel:[0,1]
	v_pk_mov_b32 v[20:21], v[8:9], v[8:9] op_sel:[0,1]
	v_pk_mov_b32 v[22:23], v[8:9], v[8:9] op_sel:[0,1]
	s_branch .LBB17_6
.LBB17_3:                               ;   in Loop: Header=BB17_6 Depth=1
	s_or_b64 exec, exec, s[36:37]
.LBB17_4:                               ;   in Loop: Header=BB17_6 Depth=1
	s_or_b64 exec, exec, s[28:29]
	s_waitcnt vmcnt(0)
	ds_bpermute_b32 v4, v45, v4
	ds_bpermute_b32 v5, v45, v5
	;; [unrolled: 1-line block ×4, first 2 shown]
.LBB17_5:                               ;   in Loop: Header=BB17_6 Depth=1
	s_waitcnt vmcnt(0) lgkmcnt(0)
	v_xor_b32_e32 v25, 0x80000000, v3
	v_cndmask_b32_e64 v3, v3, v25, s[12:13]
	v_cndmask_b32_e64 v2, v2, v2, s[12:13]
	v_xor_b32_e32 v25, 0x80000000, v7
	v_cndmask_b32_e64 v7, v7, v25, s[14:15]
	v_cndmask_b32_e64 v6, v6, v6, s[14:15]
	v_mfma_f64_16x16x4f64 v[46:53], v[0:1], v[4:5], 0
	s_add_i32 s44, s44, 4
	s_cmp_ge_i32 s44, s33
	v_add_u32_e32 v24, s40, v24
	v_add_u32_e32 v26, s41, v26
	;; [unrolled: 1-line block ×4, first 2 shown]
	v_mfma_f64_16x16x4f64 v[54:61], v[2:3], v[6:7], 0
	s_nop 7
	s_nop 2
	v_add_f64 v[60:61], v[52:53], -v[60:61]
	v_add_f64 v[58:59], v[50:51], -v[58:59]
	;; [unrolled: 1-line block ×4, first 2 shown]
	v_add_f64 v[20:21], v[20:21], v[54:55]
	v_add_f64 v[18:19], v[18:19], v[56:57]
	v_add_f64 v[14:15], v[14:15], v[58:59]
	v_add_f64 v[10:11], v[10:11], v[60:61]
	v_mfma_f64_16x16x4f64 v[46:53], v[0:1], v[6:7], 0
	v_mfma_f64_16x16x4f64 v[0:7], v[2:3], v[4:5], 0
	s_nop 7
	s_nop 2
	v_add_f64 v[6:7], v[52:53], v[6:7]
	v_add_f64 v[4:5], v[50:51], v[4:5]
	;; [unrolled: 1-line block ×8, first 2 shown]
	s_cbranch_scc1 .LBB17_28
.LBB17_6:                               ; =>This Inner Loop Header: Depth=1
	s_and_b64 vcc, exec, s[24:25]
	s_cbranch_vccz .LBB17_18
; %bb.7:                                ;   in Loop: Header=BB17_6 Depth=1
	v_pk_mov_b32 v[0:1], 0, 0
	s_mov_b64 s[28:29], 0
	v_pk_mov_b32 v[2:3], v[0:1], v[0:1] op_sel:[0,1]
	s_and_saveexec_b64 s[36:37], s[2:3]
	s_cbranch_execz .LBB17_11
; %bb.8:                                ;   in Loop: Header=BB17_6 Depth=1
	v_add_u32_e32 v0, s44, v33
	v_pk_mov_b32 v[2:3], 0, 0
	v_cmp_gt_i32_e32 vcc, s33, v0
	v_pk_mov_b32 v[0:1], v[2:3], v[2:3] op_sel:[0,1]
	s_and_saveexec_b64 s[38:39], vcc
	s_cbranch_execz .LBB17_10
; %bb.9:                                ;   in Loop: Header=BB17_6 Depth=1
	v_ashrrev_i32_e32 v27, 31, v26
	v_lshlrev_b64 v[0:1], 4, v[26:27]
	v_add_co_u32_e32 v0, vcc, v40, v0
	v_addc_co_u32_e32 v1, vcc, v41, v1, vcc
	global_load_dwordx4 v[0:3], v[0:1], off
.LBB17_10:                              ;   in Loop: Header=BB17_6 Depth=1
	s_or_b64 exec, exec, s[38:39]
.LBB17_11:                              ;   in Loop: Header=BB17_6 Depth=1
	s_or_b64 exec, exec, s[36:37]
	s_waitcnt vmcnt(0)
	ds_bpermute_b32 v0, v45, v0
	ds_bpermute_b32 v1, v45, v1
	;; [unrolled: 1-line block ×4, first 2 shown]
	s_and_b64 vcc, exec, s[28:29]
	s_cbranch_vccnz .LBB17_19
.LBB17_12:                              ;   in Loop: Header=BB17_6 Depth=1
	s_and_b64 vcc, exec, s[30:31]
	s_cbranch_vccz .LBB17_24
.LBB17_13:                              ;   in Loop: Header=BB17_6 Depth=1
	v_pk_mov_b32 v[6:7], 0, 0
	s_mov_b64 s[28:29], 0
	v_pk_mov_b32 v[4:5], v[6:7], v[6:7] op_sel:[0,1]
	s_and_saveexec_b64 s[36:37], s[10:11]
	s_cbranch_execz .LBB17_17
; %bb.14:                               ;   in Loop: Header=BB17_6 Depth=1
	v_add_u32_e32 v4, s44, v44
	v_pk_mov_b32 v[6:7], 0, 0
	v_cmp_gt_i32_e32 vcc, s33, v4
	v_pk_mov_b32 v[4:5], v[6:7], v[6:7] op_sel:[0,1]
	s_and_saveexec_b64 s[38:39], vcc
	s_cbranch_execz .LBB17_16
; %bb.15:                               ;   in Loop: Header=BB17_6 Depth=1
	v_ashrrev_i32_e32 v31, 31, v30
	v_lshlrev_b64 v[4:5], 4, v[30:31]
	v_add_co_u32_e32 v4, vcc, v42, v4
	v_addc_co_u32_e32 v5, vcc, v43, v5, vcc
	global_load_dwordx4 v[4:7], v[4:5], off
.LBB17_16:                              ;   in Loop: Header=BB17_6 Depth=1
	s_or_b64 exec, exec, s[38:39]
.LBB17_17:                              ;   in Loop: Header=BB17_6 Depth=1
	s_or_b64 exec, exec, s[36:37]
	s_andn2_b64 vcc, exec, s[28:29]
	s_cbranch_vccnz .LBB17_5
	s_branch .LBB17_25
.LBB17_18:                              ;   in Loop: Header=BB17_6 Depth=1
                                        ; implicit-def: $vgpr2_vgpr3
	s_cbranch_execz .LBB17_12
.LBB17_19:                              ;   in Loop: Header=BB17_6 Depth=1
	s_waitcnt lgkmcnt(0)
	v_pk_mov_b32 v[2:3], 0, 0
	v_pk_mov_b32 v[0:1], v[2:3], v[2:3] op_sel:[0,1]
	s_and_saveexec_b64 s[28:29], s[6:7]
	s_cbranch_execz .LBB17_23
; %bb.20:                               ;   in Loop: Header=BB17_6 Depth=1
	v_add_u32_e32 v0, s44, v44
	v_pk_mov_b32 v[2:3], 0, 0
	v_cmp_gt_i32_e32 vcc, s33, v0
	v_pk_mov_b32 v[0:1], v[2:3], v[2:3] op_sel:[0,1]
	s_and_saveexec_b64 s[36:37], vcc
	s_cbranch_execz .LBB17_22
; %bb.21:                               ;   in Loop: Header=BB17_6 Depth=1
	v_ashrrev_i32_e32 v25, 31, v24
	v_lshlrev_b64 v[0:1], 4, v[24:25]
	v_add_co_u32_e32 v0, vcc, v40, v0
	v_addc_co_u32_e32 v1, vcc, v41, v1, vcc
	global_load_dwordx4 v[0:3], v[0:1], off
.LBB17_22:                              ;   in Loop: Header=BB17_6 Depth=1
	s_or_b64 exec, exec, s[36:37]
.LBB17_23:                              ;   in Loop: Header=BB17_6 Depth=1
	s_or_b64 exec, exec, s[28:29]
	s_and_b64 vcc, exec, s[30:31]
	s_cbranch_vccnz .LBB17_13
.LBB17_24:                              ;   in Loop: Header=BB17_6 Depth=1
                                        ; implicit-def: $vgpr6_vgpr7
.LBB17_25:                              ;   in Loop: Header=BB17_6 Depth=1
	s_waitcnt vmcnt(0)
	v_pk_mov_b32 v[4:5], 0, 0
	v_pk_mov_b32 v[6:7], v[4:5], v[4:5] op_sel:[0,1]
	s_and_saveexec_b64 s[28:29], s[0:1]
	s_cbranch_execz .LBB17_4
; %bb.26:                               ;   in Loop: Header=BB17_6 Depth=1
	v_add_u32_e32 v4, s44, v33
	v_pk_mov_b32 v[6:7], 0, 0
	v_cmp_gt_i32_e32 vcc, s33, v4
	v_pk_mov_b32 v[4:5], v[6:7], v[6:7] op_sel:[0,1]
	s_and_saveexec_b64 s[36:37], vcc
	s_cbranch_execz .LBB17_3
; %bb.27:                               ;   in Loop: Header=BB17_6 Depth=1
	v_ashrrev_i32_e32 v29, 31, v28
	v_lshlrev_b64 v[4:5], 4, v[28:29]
	v_add_co_u32_e32 v4, vcc, v42, v4
	v_addc_co_u32_e32 v5, vcc, v43, v5, vcc
	global_load_dwordx4 v[4:7], v[4:5], off
	s_branch .LBB17_3
.LBB17_28:
	s_load_dwordx4 s[4:7], s[4:5], 0x78
	s_waitcnt lgkmcnt(0)
	s_mul_i32 s1, s8, s7
	s_mul_hi_u32 s2, s8, s6
	s_mul_i32 s3, s9, s6
	s_add_i32 s1, s2, s1
	s_mul_i32 s0, s8, s6
	s_add_i32 s1, s1, s3
	s_lshl_b64 s[0:1], s[0:1], 4
	s_add_u32 s2, s26, s0
	s_addc_u32 s3, s27, s1
	s_lshl_b64 s[0:1], s[34:35], 4
	s_add_u32 s2, s2, s0
	v_mul_lo_u32 v0, v35, s4
	s_addc_u32 s3, s3, s1
	v_mad_u64_u32 v[0:1], s[0:1], v36, s5, v[0:1]
	v_ashrrev_i32_e32 v1, 31, v0
	v_lshlrev_b64 v[2:3], 4, v[0:1]
	v_mov_b32_e32 v0, s3
	v_add_co_u32_e32 v1, vcc, s2, v2
	v_addc_co_u32_e32 v6, vcc, v0, v3, vcc
	v_lshlrev_b32_e32 v0, 4, v34
	v_mbcnt_hi_u32_b32 v2, -1, v39
	v_and_b32_e32 v0, 48, v0
	v_and_b32_e32 v2, 64, v2
	v_or3_b32 v0, v0, v2, v38
	v_lshlrev_b32_e32 v7, 2, v0
	ds_bpermute_b32 v2, v7, v20
	ds_bpermute_b32 v3, v7, v21
	;; [unrolled: 1-line block ×4, first 2 shown]
	v_cmp_lt_i32_e32 vcc, v38, v37
	v_cmp_lt_i32_e64 s[0:1], v33, v32
	v_mul_lo_u32 v0, v38, s5
	s_and_b64 s[0:1], vcc, s[0:1]
	s_and_saveexec_b64 s[2:3], s[0:1]
	s_cbranch_execz .LBB17_30
; %bb.29:
	v_mad_u64_u32 v[20:21], s[0:1], v33, s4, v[0:1]
	v_ashrrev_i32_e32 v21, 31, v20
	v_lshlrev_b64 v[20:21], 4, v[20:21]
	v_add_co_u32_e64 v24, s[0:1], v1, v20
	v_addc_co_u32_e64 v25, s[0:1], v6, v21, s[0:1]
	global_load_dwordx4 v[20:23], v[24:25], off
	s_waitcnt lgkmcnt(0)
	v_mul_f64 v[26:27], s[22:23], v[4:5]
	v_mul_f64 v[4:5], s[20:21], v[4:5]
	v_fma_f64 v[26:27], s[20:21], v[2:3], -v[26:27]
	v_fmac_f64_e32 v[4:5], s[22:23], v[2:3]
	s_waitcnt vmcnt(0)
	v_mul_f64 v[2:3], s[18:19], v[22:23]
	v_mul_f64 v[22:23], s[16:17], v[22:23]
	v_fma_f64 v[2:3], s[16:17], v[20:21], -v[2:3]
	v_fmac_f64_e32 v[22:23], s[18:19], v[20:21]
	v_add_f64 v[2:3], v[26:27], v[2:3]
	v_add_f64 v[4:5], v[4:5], v[22:23]
	global_store_dwordx4 v[24:25], v[2:5], off
.LBB17_30:
	s_or_b64 exec, exec, s[2:3]
	s_waitcnt lgkmcnt(3)
	ds_bpermute_b32 v2, v7, v18
	s_waitcnt lgkmcnt(3)
	ds_bpermute_b32 v3, v7, v19
	s_waitcnt lgkmcnt(3)
	ds_bpermute_b32 v4, v7, v16
	s_waitcnt lgkmcnt(3)
	ds_bpermute_b32 v5, v7, v17
	v_or_b32_e32 v16, 4, v33
	v_cmp_lt_i32_e64 s[0:1], v16, v32
	s_and_b64 s[0:1], vcc, s[0:1]
	s_and_saveexec_b64 s[2:3], s[0:1]
	s_cbranch_execz .LBB17_32
; %bb.31:
	v_mad_u64_u32 v[16:17], s[0:1], v16, s4, v[0:1]
	v_ashrrev_i32_e32 v17, 31, v16
	v_lshlrev_b64 v[16:17], 4, v[16:17]
	v_add_co_u32_e64 v20, s[0:1], v1, v16
	v_addc_co_u32_e64 v21, s[0:1], v6, v17, s[0:1]
	global_load_dwordx4 v[16:19], v[20:21], off
	s_waitcnt lgkmcnt(0)
	v_mul_f64 v[22:23], s[22:23], v[4:5]
	v_mul_f64 v[4:5], s[20:21], v[4:5]
	v_fma_f64 v[22:23], s[20:21], v[2:3], -v[22:23]
	v_fmac_f64_e32 v[4:5], s[22:23], v[2:3]
	s_waitcnt vmcnt(0)
	v_mul_f64 v[2:3], s[18:19], v[18:19]
	v_mul_f64 v[18:19], s[16:17], v[18:19]
	v_fma_f64 v[2:3], s[16:17], v[16:17], -v[2:3]
	v_fmac_f64_e32 v[18:19], s[18:19], v[16:17]
	v_add_f64 v[2:3], v[22:23], v[2:3]
	v_add_f64 v[4:5], v[4:5], v[18:19]
	global_store_dwordx4 v[20:21], v[2:5], off
.LBB17_32:
	s_or_b64 exec, exec, s[2:3]
	s_waitcnt lgkmcnt(3)
	ds_bpermute_b32 v2, v7, v14
	s_waitcnt lgkmcnt(3)
	ds_bpermute_b32 v3, v7, v15
	s_waitcnt lgkmcnt(3)
	ds_bpermute_b32 v4, v7, v12
	s_waitcnt lgkmcnt(3)
	ds_bpermute_b32 v5, v7, v13
	v_or_b32_e32 v12, 8, v33
	v_cmp_lt_i32_e64 s[0:1], v12, v32
	;; [unrolled: 35-line block ×3, first 2 shown]
	s_and_b64 s[0:1], vcc, s[0:1]
	s_and_b64 exec, exec, s[0:1]
	s_cbranch_execz .LBB17_36
; %bb.35:
	v_mad_u64_u32 v[8:9], s[0:1], v7, s4, v[0:1]
	v_ashrrev_i32_e32 v9, 31, v8
	v_lshlrev_b64 v[8:9], 4, v[8:9]
	v_add_co_u32_e32 v10, vcc, v1, v8
	v_addc_co_u32_e32 v11, vcc, v6, v9, vcc
	global_load_dwordx4 v[6:9], v[10:11], off
	s_waitcnt lgkmcnt(0)
	v_mul_f64 v[0:1], s[22:23], v[4:5]
	v_mul_f64 v[4:5], s[20:21], v[4:5]
	v_fma_f64 v[0:1], s[20:21], v[2:3], -v[0:1]
	v_fmac_f64_e32 v[4:5], s[22:23], v[2:3]
	s_waitcnt vmcnt(0)
	v_mul_f64 v[2:3], s[18:19], v[8:9]
	v_mul_f64 v[8:9], s[16:17], v[8:9]
	v_fma_f64 v[2:3], s[16:17], v[6:7], -v[2:3]
	v_fmac_f64_e32 v[8:9], s[18:19], v[6:7]
	v_add_f64 v[0:1], v[0:1], v[2:3]
	v_add_f64 v[2:3], v[4:5], v[8:9]
	global_store_dwordx4 v[10:11], v[0:3], off
.LBB17_36:
	s_endpgm
	.section	.rodata,"a",@progbits
	.p2align	6, 0x0
	.amdhsa_kernel _ZN9rocsolver6v33100L16mfma_gemm_kernelI19rocblas_complex_numIdEiPKS3_PKPS3_S8_S6_EEv18rocblas_operation_S9_T0_SA_SA_T1_T2_lSA_SA_lT3_lSA_SA_lSB_T4_lSA_SA_l
		.amdhsa_group_segment_fixed_size 0
		.amdhsa_private_segment_fixed_size 0
		.amdhsa_kernarg_size 392
		.amdhsa_user_sgpr_count 6
		.amdhsa_user_sgpr_private_segment_buffer 1
		.amdhsa_user_sgpr_dispatch_ptr 0
		.amdhsa_user_sgpr_queue_ptr 0
		.amdhsa_user_sgpr_kernarg_segment_ptr 1
		.amdhsa_user_sgpr_dispatch_id 0
		.amdhsa_user_sgpr_flat_scratch_init 0
		.amdhsa_user_sgpr_kernarg_preload_length 0
		.amdhsa_user_sgpr_kernarg_preload_offset 0
		.amdhsa_user_sgpr_private_segment_size 0
		.amdhsa_uses_dynamic_stack 0
		.amdhsa_system_sgpr_private_segment_wavefront_offset 0
		.amdhsa_system_sgpr_workgroup_id_x 1
		.amdhsa_system_sgpr_workgroup_id_y 1
		.amdhsa_system_sgpr_workgroup_id_z 1
		.amdhsa_system_sgpr_workgroup_info 0
		.amdhsa_system_vgpr_workitem_id 1
		.amdhsa_next_free_vgpr 62
		.amdhsa_next_free_sgpr 45
		.amdhsa_accum_offset 64
		.amdhsa_reserve_vcc 1
		.amdhsa_reserve_flat_scratch 0
		.amdhsa_float_round_mode_32 0
		.amdhsa_float_round_mode_16_64 0
		.amdhsa_float_denorm_mode_32 3
		.amdhsa_float_denorm_mode_16_64 3
		.amdhsa_dx10_clamp 1
		.amdhsa_ieee_mode 1
		.amdhsa_fp16_overflow 0
		.amdhsa_tg_split 0
		.amdhsa_exception_fp_ieee_invalid_op 0
		.amdhsa_exception_fp_denorm_src 0
		.amdhsa_exception_fp_ieee_div_zero 0
		.amdhsa_exception_fp_ieee_overflow 0
		.amdhsa_exception_fp_ieee_underflow 0
		.amdhsa_exception_fp_ieee_inexact 0
		.amdhsa_exception_int_div_zero 0
	.end_amdhsa_kernel
	.section	.text._ZN9rocsolver6v33100L16mfma_gemm_kernelI19rocblas_complex_numIdEiPKS3_PKPS3_S8_S6_EEv18rocblas_operation_S9_T0_SA_SA_T1_T2_lSA_SA_lT3_lSA_SA_lSB_T4_lSA_SA_l,"axG",@progbits,_ZN9rocsolver6v33100L16mfma_gemm_kernelI19rocblas_complex_numIdEiPKS3_PKPS3_S8_S6_EEv18rocblas_operation_S9_T0_SA_SA_T1_T2_lSA_SA_lT3_lSA_SA_lSB_T4_lSA_SA_l,comdat
.Lfunc_end17:
	.size	_ZN9rocsolver6v33100L16mfma_gemm_kernelI19rocblas_complex_numIdEiPKS3_PKPS3_S8_S6_EEv18rocblas_operation_S9_T0_SA_SA_T1_T2_lSA_SA_lT3_lSA_SA_lSB_T4_lSA_SA_l, .Lfunc_end17-_ZN9rocsolver6v33100L16mfma_gemm_kernelI19rocblas_complex_numIdEiPKS3_PKPS3_S8_S6_EEv18rocblas_operation_S9_T0_SA_SA_T1_T2_lSA_SA_lT3_lSA_SA_lSB_T4_lSA_SA_l
                                        ; -- End function
	.section	.AMDGPU.csdata,"",@progbits
; Kernel info:
; codeLenInByte = 2460
; NumSgprs: 49
; NumVgprs: 62
; NumAgprs: 0
; TotalNumVgprs: 62
; ScratchSize: 0
; MemoryBound: 1
; FloatMode: 240
; IeeeMode: 1
; LDSByteSize: 0 bytes/workgroup (compile time only)
; SGPRBlocks: 6
; VGPRBlocks: 7
; NumSGPRsForWavesPerEU: 49
; NumVGPRsForWavesPerEU: 62
; AccumOffset: 64
; Occupancy: 8
; WaveLimiterHint : 1
; COMPUTE_PGM_RSRC2:SCRATCH_EN: 0
; COMPUTE_PGM_RSRC2:USER_SGPR: 6
; COMPUTE_PGM_RSRC2:TRAP_HANDLER: 0
; COMPUTE_PGM_RSRC2:TGID_X_EN: 1
; COMPUTE_PGM_RSRC2:TGID_Y_EN: 1
; COMPUTE_PGM_RSRC2:TGID_Z_EN: 1
; COMPUTE_PGM_RSRC2:TIDIG_COMP_CNT: 1
; COMPUTE_PGM_RSRC3_GFX90A:ACCUM_OFFSET: 15
; COMPUTE_PGM_RSRC3_GFX90A:TG_SPLIT: 0
	.section	.text._ZN9rocsolver6v33100L16mfma_gemm_kernelI19rocblas_complex_numIdEiS3_PKPS3_S6_S4_EEv18rocblas_operation_S7_T0_S8_S8_T1_T2_lS8_S8_lT3_lS8_S8_lS9_T4_lS8_S8_l,"axG",@progbits,_ZN9rocsolver6v33100L16mfma_gemm_kernelI19rocblas_complex_numIdEiS3_PKPS3_S6_S4_EEv18rocblas_operation_S7_T0_S8_S8_T1_T2_lS8_S8_lT3_lS8_S8_lS9_T4_lS8_S8_l,comdat
	.globl	_ZN9rocsolver6v33100L16mfma_gemm_kernelI19rocblas_complex_numIdEiS3_PKPS3_S6_S4_EEv18rocblas_operation_S7_T0_S8_S8_T1_T2_lS8_S8_lT3_lS8_S8_lS9_T4_lS8_S8_l ; -- Begin function _ZN9rocsolver6v33100L16mfma_gemm_kernelI19rocblas_complex_numIdEiS3_PKPS3_S6_S4_EEv18rocblas_operation_S7_T0_S8_S8_T1_T2_lS8_S8_lT3_lS8_S8_lS9_T4_lS8_S8_l
	.p2align	8
	.type	_ZN9rocsolver6v33100L16mfma_gemm_kernelI19rocblas_complex_numIdEiS3_PKPS3_S6_S4_EEv18rocblas_operation_S7_T0_S8_S8_T1_T2_lS8_S8_lT3_lS8_S8_lS9_T4_lS8_S8_l,@function
_ZN9rocsolver6v33100L16mfma_gemm_kernelI19rocblas_complex_numIdEiS3_PKPS3_S6_S4_EEv18rocblas_operation_S7_T0_S8_S8_T1_T2_lS8_S8_lT3_lS8_S8_lS9_T4_lS8_S8_l: ; @_ZN9rocsolver6v33100L16mfma_gemm_kernelI19rocblas_complex_numIdEiS3_PKPS3_S6_S4_EEv18rocblas_operation_S7_T0_S8_S8_T1_T2_lS8_S8_lT3_lS8_S8_lS9_T4_lS8_S8_l
; %bb.0:
	s_load_dword s0, s[4:5], 0xa4
	s_load_dwordx4 s[24:27], s[4:5], 0x0
	v_and_b32_e32 v34, 0x3ff, v0
	v_bfe_u32 v0, v0, 10, 10
	v_lshrrev_b32_e32 v1, 6, v34
	s_waitcnt lgkmcnt(0)
	s_lshr_b32 s1, s0, 16
	s_bfe_u32 s0, s0, 0xa0006
	s_mul_i32 s7, s7, s1
	s_mul_i32 s6, s6, s0
	v_add_u32_e32 v0, s7, v0
	v_add_lshl_u32 v36, s6, v1, 4
	v_lshlrev_b32_e32 v38, 4, v0
	v_cmp_gt_i32_e32 vcc, s26, v36
	v_cmp_gt_i32_e64 s[0:1], s27, v38
	s_and_b64 s[0:1], vcc, s[0:1]
	s_and_saveexec_b64 s[2:3], s[0:1]
	s_cbranch_execz .LBB18_36
; %bb.1:
	s_ashr_i32 s0, s26, 31
	s_lshr_b32 s0, s0, 28
	s_add_i32 s0, s26, s0
	s_and_b32 s0, s0, -16
	s_sub_i32 s0, s26, s0
	v_mov_b32_e32 v1, s0
	s_ashr_i32 s0, s27, 31
	s_lshr_b32 s0, s0, 28
	s_add_i32 s0, s27, s0
	s_load_dword s30, s[4:5], 0x10
	s_load_dwordx8 s[16:23], s[4:5], 0x18
	v_add_u32_e32 v0, 16, v36
	s_and_b32 s0, s0, -16
	v_cmp_lt_i32_e32 vcc, s26, v0
	v_add_u32_e32 v0, 16, v38
	s_sub_i32 s0, s27, s0
	v_cndmask_b32_e32 v32, 16, v1, vcc
	v_mov_b32_e32 v1, s0
	v_cmp_lt_i32_e32 vcc, s27, v0
	v_cndmask_b32_e32 v35, 16, v1, vcc
	s_ashr_i32 s9, s8, 31
	v_bfe_u32 v37, v34, 2, 4
	v_pk_mov_b32 v[20:21], 0, 0
	v_and_b32_e32 v33, 3, v34
	s_waitcnt lgkmcnt(0)
	s_cmp_lt_i32 s30, 1
	v_cmp_lt_i32_e64 s[0:1], v37, v35
	v_mbcnt_lo_u32_b32 v39, -1, 0
	v_pk_mov_b32 v[22:23], v[20:21], v[20:21] op_sel:[0,1]
	v_pk_mov_b32 v[8:9], v[20:21], v[20:21] op_sel:[0,1]
	v_pk_mov_b32 v[10:11], v[20:21], v[20:21] op_sel:[0,1]
	v_pk_mov_b32 v[12:13], v[20:21], v[20:21] op_sel:[0,1]
	v_pk_mov_b32 v[14:15], v[20:21], v[20:21] op_sel:[0,1]
	v_pk_mov_b32 v[16:17], v[20:21], v[20:21] op_sel:[0,1]
	v_pk_mov_b32 v[18:19], v[20:21], v[20:21] op_sel:[0,1]
	s_cbranch_scc1 .LBB18_28
; %bb.2:
	s_lshl_b64 s[2:3], s[8:9], 3
	s_add_u32 s6, s20, s2
	s_addc_u32 s7, s21, s3
	s_load_dwordx2 s[10:11], s[6:7], 0x0
	s_load_dwordx4 s[12:15], s[4:5], 0x48
	s_load_dwordx2 s[26:27], s[4:5], 0x38
	s_lshl_b64 s[6:7], s[22:23], 4
	s_load_dwordx2 s[28:29], s[4:5], 0x58
	s_waitcnt lgkmcnt(0)
	s_add_u32 s10, s10, s6
	s_addc_u32 s6, s11, s7
	s_add_u32 s2, s12, s2
	s_addc_u32 s3, s13, s3
	s_load_dwordx2 s[2:3], s[2:3], 0x0
	v_mov_b32_e32 v3, s6
	s_lshl_b64 s[6:7], s[14:15], 4
	v_and_b32_e32 v2, 63, v34
	v_lshrrev_b32_e32 v44, 4, v2
	s_waitcnt lgkmcnt(0)
	s_add_u32 s2, s2, s6
	s_addc_u32 s3, s3, s7
	s_cmpk_lg_i32 s24, 0x6f
	s_cselect_b64 s[20:21], -1, 0
	s_cmpk_eq_i32 s24, 0x6f
	s_cselect_b32 s6, s26, s27
	v_mul_lo_u32 v0, v36, s6
	s_cmpk_lg_i32 s25, 0x6f
	v_ashrrev_i32_e32 v1, 31, v0
	s_cselect_b64 s[22:23], -1, 0
	s_cmpk_eq_i32 s25, 0x6f
	v_lshlrev_b64 v[0:1], 4, v[0:1]
	s_cselect_b32 s6, s29, s28
	v_add_co_u32_e32 v40, vcc, s10, v0
	v_mul_lo_u32 v0, v38, s6
	v_addc_co_u32_e32 v41, vcc, v3, v1, vcc
	v_ashrrev_i32_e32 v1, 31, v0
	v_lshlrev_b64 v[0:1], 4, v[0:1]
	v_mov_b32_e32 v3, s3
	v_add_co_u32_e32 v42, vcc, s2, v0
	v_addc_co_u32_e32 v43, vcc, v3, v1, vcc
	v_and_b32_e32 v1, 15, v34
	v_mul_lo_u32 v0, v1, s26
	s_cmpk_eq_i32 s24, 0x71
	s_cselect_b64 s[12:13], -1, 0
	s_cmpk_eq_i32 s25, 0x71
	v_mad_u64_u32 v[24:25], s[24:25], s27, v44, v[0:1]
	v_mul_lo_u32 v0, s26, v33
	v_mad_u64_u32 v[26:27], s[24:25], v37, s27, v[0:1]
	v_mul_lo_u32 v0, s28, v33
	v_lshl_or_b32 v3, v1, 2, v44
	v_mad_u64_u32 v[28:29], s[24:25], v37, s29, v[0:1]
	v_mbcnt_hi_u32_b32 v0, -1, v39
	v_mul_lo_u32 v2, v1, s28
	v_pk_mov_b32 v[8:9], 0, 0
	v_and_or_b32 v0, v0, 64, v3
	v_cmp_lt_i32_e64 s[2:3], v37, v32
	v_cmp_lt_i32_e64 s[6:7], v1, v32
	;; [unrolled: 1-line block ×3, first 2 shown]
	s_cselect_b64 s[14:15], -1, 0
	s_lshl_b32 s31, s27, 2
	s_lshl_b32 s33, s26, 2
	;; [unrolled: 1-line block ×3, first 2 shown]
	v_mad_u64_u32 v[30:31], s[24:25], s29, v44, v[2:3]
	s_lshl_b32 s35, s29, 2
	s_mov_b32 s36, 0
	v_lshlrev_b32_e32 v45, 2, v0
	v_pk_mov_b32 v[12:13], v[8:9], v[8:9] op_sel:[0,1]
	v_pk_mov_b32 v[16:17], v[8:9], v[8:9] op_sel:[0,1]
	;; [unrolled: 1-line block ×7, first 2 shown]
	s_branch .LBB18_6
.LBB18_3:                               ;   in Loop: Header=BB18_6 Depth=1
	s_or_b64 exec, exec, s[26:27]
.LBB18_4:                               ;   in Loop: Header=BB18_6 Depth=1
	s_or_b64 exec, exec, s[24:25]
	s_waitcnt vmcnt(0)
	ds_bpermute_b32 v4, v45, v4
	ds_bpermute_b32 v5, v45, v5
	;; [unrolled: 1-line block ×4, first 2 shown]
.LBB18_5:                               ;   in Loop: Header=BB18_6 Depth=1
	s_waitcnt vmcnt(0) lgkmcnt(0)
	v_xor_b32_e32 v25, 0x80000000, v3
	v_cndmask_b32_e64 v3, v3, v25, s[12:13]
	v_cndmask_b32_e64 v2, v2, v2, s[12:13]
	v_xor_b32_e32 v25, 0x80000000, v7
	v_cndmask_b32_e64 v7, v7, v25, s[14:15]
	v_cndmask_b32_e64 v6, v6, v6, s[14:15]
	v_mfma_f64_16x16x4f64 v[46:53], v[0:1], v[4:5], 0
	s_add_i32 s36, s36, 4
	s_cmp_ge_i32 s36, s30
	v_add_u32_e32 v24, s31, v24
	v_add_u32_e32 v26, s33, v26
	;; [unrolled: 1-line block ×4, first 2 shown]
	v_mfma_f64_16x16x4f64 v[54:61], v[2:3], v[6:7], 0
	s_nop 7
	s_nop 2
	v_add_f64 v[60:61], v[52:53], -v[60:61]
	v_add_f64 v[58:59], v[50:51], -v[58:59]
	;; [unrolled: 1-line block ×4, first 2 shown]
	v_add_f64 v[20:21], v[20:21], v[54:55]
	v_add_f64 v[18:19], v[18:19], v[56:57]
	;; [unrolled: 1-line block ×4, first 2 shown]
	v_mfma_f64_16x16x4f64 v[46:53], v[0:1], v[6:7], 0
	v_mfma_f64_16x16x4f64 v[0:7], v[2:3], v[4:5], 0
	s_nop 7
	s_nop 2
	v_add_f64 v[6:7], v[52:53], v[6:7]
	v_add_f64 v[4:5], v[50:51], v[4:5]
	;; [unrolled: 1-line block ×8, first 2 shown]
	s_cbranch_scc1 .LBB18_28
.LBB18_6:                               ; =>This Inner Loop Header: Depth=1
	s_and_b64 vcc, exec, s[20:21]
	s_cbranch_vccz .LBB18_18
; %bb.7:                                ;   in Loop: Header=BB18_6 Depth=1
	v_pk_mov_b32 v[0:1], 0, 0
	s_mov_b64 s[24:25], 0
	v_pk_mov_b32 v[2:3], v[0:1], v[0:1] op_sel:[0,1]
	s_and_saveexec_b64 s[26:27], s[2:3]
	s_cbranch_execz .LBB18_11
; %bb.8:                                ;   in Loop: Header=BB18_6 Depth=1
	v_add_u32_e32 v0, s36, v33
	v_pk_mov_b32 v[2:3], 0, 0
	v_cmp_gt_i32_e32 vcc, s30, v0
	v_pk_mov_b32 v[0:1], v[2:3], v[2:3] op_sel:[0,1]
	s_and_saveexec_b64 s[28:29], vcc
	s_cbranch_execz .LBB18_10
; %bb.9:                                ;   in Loop: Header=BB18_6 Depth=1
	v_ashrrev_i32_e32 v27, 31, v26
	v_lshlrev_b64 v[0:1], 4, v[26:27]
	v_add_co_u32_e32 v0, vcc, v40, v0
	v_addc_co_u32_e32 v1, vcc, v41, v1, vcc
	global_load_dwordx4 v[0:3], v[0:1], off
.LBB18_10:                              ;   in Loop: Header=BB18_6 Depth=1
	s_or_b64 exec, exec, s[28:29]
.LBB18_11:                              ;   in Loop: Header=BB18_6 Depth=1
	s_or_b64 exec, exec, s[26:27]
	s_waitcnt vmcnt(0)
	ds_bpermute_b32 v0, v45, v0
	ds_bpermute_b32 v1, v45, v1
	;; [unrolled: 1-line block ×4, first 2 shown]
	s_and_b64 vcc, exec, s[24:25]
	s_cbranch_vccnz .LBB18_19
.LBB18_12:                              ;   in Loop: Header=BB18_6 Depth=1
	s_and_b64 vcc, exec, s[22:23]
	s_cbranch_vccz .LBB18_24
.LBB18_13:                              ;   in Loop: Header=BB18_6 Depth=1
	v_pk_mov_b32 v[6:7], 0, 0
	s_mov_b64 s[24:25], 0
	v_pk_mov_b32 v[4:5], v[6:7], v[6:7] op_sel:[0,1]
	s_and_saveexec_b64 s[26:27], s[10:11]
	s_cbranch_execz .LBB18_17
; %bb.14:                               ;   in Loop: Header=BB18_6 Depth=1
	v_add_u32_e32 v4, s36, v44
	v_pk_mov_b32 v[6:7], 0, 0
	v_cmp_gt_i32_e32 vcc, s30, v4
	v_pk_mov_b32 v[4:5], v[6:7], v[6:7] op_sel:[0,1]
	s_and_saveexec_b64 s[28:29], vcc
	s_cbranch_execz .LBB18_16
; %bb.15:                               ;   in Loop: Header=BB18_6 Depth=1
	v_ashrrev_i32_e32 v31, 31, v30
	v_lshlrev_b64 v[4:5], 4, v[30:31]
	v_add_co_u32_e32 v4, vcc, v42, v4
	v_addc_co_u32_e32 v5, vcc, v43, v5, vcc
	global_load_dwordx4 v[4:7], v[4:5], off
.LBB18_16:                              ;   in Loop: Header=BB18_6 Depth=1
	s_or_b64 exec, exec, s[28:29]
.LBB18_17:                              ;   in Loop: Header=BB18_6 Depth=1
	s_or_b64 exec, exec, s[26:27]
	s_andn2_b64 vcc, exec, s[24:25]
	s_cbranch_vccnz .LBB18_5
	s_branch .LBB18_25
.LBB18_18:                              ;   in Loop: Header=BB18_6 Depth=1
                                        ; implicit-def: $vgpr2_vgpr3
	s_cbranch_execz .LBB18_12
.LBB18_19:                              ;   in Loop: Header=BB18_6 Depth=1
	s_waitcnt lgkmcnt(0)
	v_pk_mov_b32 v[2:3], 0, 0
	v_pk_mov_b32 v[0:1], v[2:3], v[2:3] op_sel:[0,1]
	s_and_saveexec_b64 s[24:25], s[6:7]
	s_cbranch_execz .LBB18_23
; %bb.20:                               ;   in Loop: Header=BB18_6 Depth=1
	v_add_u32_e32 v0, s36, v44
	v_pk_mov_b32 v[2:3], 0, 0
	v_cmp_gt_i32_e32 vcc, s30, v0
	v_pk_mov_b32 v[0:1], v[2:3], v[2:3] op_sel:[0,1]
	s_and_saveexec_b64 s[26:27], vcc
	s_cbranch_execz .LBB18_22
; %bb.21:                               ;   in Loop: Header=BB18_6 Depth=1
	v_ashrrev_i32_e32 v25, 31, v24
	v_lshlrev_b64 v[0:1], 4, v[24:25]
	v_add_co_u32_e32 v0, vcc, v40, v0
	v_addc_co_u32_e32 v1, vcc, v41, v1, vcc
	global_load_dwordx4 v[0:3], v[0:1], off
.LBB18_22:                              ;   in Loop: Header=BB18_6 Depth=1
	s_or_b64 exec, exec, s[26:27]
.LBB18_23:                              ;   in Loop: Header=BB18_6 Depth=1
	s_or_b64 exec, exec, s[24:25]
	s_and_b64 vcc, exec, s[22:23]
	s_cbranch_vccnz .LBB18_13
.LBB18_24:                              ;   in Loop: Header=BB18_6 Depth=1
                                        ; implicit-def: $vgpr6_vgpr7
.LBB18_25:                              ;   in Loop: Header=BB18_6 Depth=1
	s_waitcnt vmcnt(0)
	v_pk_mov_b32 v[4:5], 0, 0
	v_pk_mov_b32 v[6:7], v[4:5], v[4:5] op_sel:[0,1]
	s_and_saveexec_b64 s[24:25], s[0:1]
	s_cbranch_execz .LBB18_4
; %bb.26:                               ;   in Loop: Header=BB18_6 Depth=1
	v_add_u32_e32 v4, s36, v33
	v_pk_mov_b32 v[6:7], 0, 0
	v_cmp_gt_i32_e32 vcc, s30, v4
	v_pk_mov_b32 v[4:5], v[6:7], v[6:7] op_sel:[0,1]
	s_and_saveexec_b64 s[26:27], vcc
	s_cbranch_execz .LBB18_3
; %bb.27:                               ;   in Loop: Header=BB18_6 Depth=1
	v_ashrrev_i32_e32 v29, 31, v28
	v_lshlrev_b64 v[4:5], 4, v[28:29]
	v_add_co_u32_e32 v4, vcc, v42, v4
	v_addc_co_u32_e32 v5, vcc, v43, v5, vcc
	global_load_dwordx4 v[4:7], v[4:5], off
	s_branch .LBB18_3
.LBB18_28:
	s_load_dwordx8 s[20:27], s[4:5], 0x68
	s_nop 0
	s_load_dwordx4 s[4:7], s[4:5], 0x88
	s_waitcnt lgkmcnt(0)
	s_mul_i32 s1, s8, s7
	s_mul_hi_u32 s2, s8, s6
	s_mul_i32 s3, s9, s6
	s_add_i32 s1, s2, s1
	s_mul_i32 s0, s8, s6
	s_add_i32 s1, s1, s3
	s_lshl_b64 s[0:1], s[0:1], 4
	s_add_u32 s2, s24, s0
	s_addc_u32 s3, s25, s1
	s_lshl_b64 s[0:1], s[26:27], 4
	s_add_u32 s2, s2, s0
	v_mul_lo_u32 v0, v36, s4
	s_addc_u32 s3, s3, s1
	v_mad_u64_u32 v[0:1], s[0:1], v38, s5, v[0:1]
	v_ashrrev_i32_e32 v1, 31, v0
	v_lshlrev_b64 v[2:3], 4, v[0:1]
	v_mov_b32_e32 v0, s3
	v_add_co_u32_e32 v1, vcc, s2, v2
	v_addc_co_u32_e32 v6, vcc, v0, v3, vcc
	v_lshlrev_b32_e32 v0, 4, v34
	v_mbcnt_hi_u32_b32 v2, -1, v39
	v_and_b32_e32 v0, 48, v0
	v_and_b32_e32 v2, 64, v2
	v_or3_b32 v0, v0, v2, v37
	v_lshlrev_b32_e32 v7, 2, v0
	ds_bpermute_b32 v2, v7, v20
	ds_bpermute_b32 v3, v7, v21
	;; [unrolled: 1-line block ×4, first 2 shown]
	v_cmp_lt_i32_e32 vcc, v37, v35
	v_cmp_lt_i32_e64 s[0:1], v33, v32
	v_mul_lo_u32 v0, v37, s5
	s_and_b64 s[0:1], vcc, s[0:1]
	s_and_saveexec_b64 s[2:3], s[0:1]
	s_cbranch_execz .LBB18_30
; %bb.29:
	v_mad_u64_u32 v[20:21], s[0:1], v33, s4, v[0:1]
	v_ashrrev_i32_e32 v21, 31, v20
	v_lshlrev_b64 v[20:21], 4, v[20:21]
	v_add_co_u32_e64 v24, s[0:1], v1, v20
	v_addc_co_u32_e64 v25, s[0:1], v6, v21, s[0:1]
	global_load_dwordx4 v[20:23], v[24:25], off
	s_waitcnt lgkmcnt(0)
	v_mul_f64 v[26:27], s[18:19], v[4:5]
	v_mul_f64 v[4:5], s[16:17], v[4:5]
	v_fma_f64 v[26:27], s[16:17], v[2:3], -v[26:27]
	v_fmac_f64_e32 v[4:5], s[18:19], v[2:3]
	s_waitcnt vmcnt(0)
	v_mul_f64 v[2:3], s[22:23], v[22:23]
	v_mul_f64 v[22:23], s[20:21], v[22:23]
	v_fma_f64 v[2:3], s[20:21], v[20:21], -v[2:3]
	v_fmac_f64_e32 v[22:23], s[22:23], v[20:21]
	v_add_f64 v[2:3], v[26:27], v[2:3]
	v_add_f64 v[4:5], v[4:5], v[22:23]
	global_store_dwordx4 v[24:25], v[2:5], off
.LBB18_30:
	s_or_b64 exec, exec, s[2:3]
	s_waitcnt lgkmcnt(3)
	ds_bpermute_b32 v2, v7, v18
	s_waitcnt lgkmcnt(3)
	ds_bpermute_b32 v3, v7, v19
	s_waitcnt lgkmcnt(3)
	ds_bpermute_b32 v4, v7, v16
	s_waitcnt lgkmcnt(3)
	ds_bpermute_b32 v5, v7, v17
	v_or_b32_e32 v16, 4, v33
	v_cmp_lt_i32_e64 s[0:1], v16, v32
	s_and_b64 s[0:1], vcc, s[0:1]
	s_and_saveexec_b64 s[2:3], s[0:1]
	s_cbranch_execz .LBB18_32
; %bb.31:
	v_mad_u64_u32 v[16:17], s[0:1], v16, s4, v[0:1]
	v_ashrrev_i32_e32 v17, 31, v16
	v_lshlrev_b64 v[16:17], 4, v[16:17]
	v_add_co_u32_e64 v20, s[0:1], v1, v16
	v_addc_co_u32_e64 v21, s[0:1], v6, v17, s[0:1]
	global_load_dwordx4 v[16:19], v[20:21], off
	s_waitcnt lgkmcnt(0)
	v_mul_f64 v[22:23], s[18:19], v[4:5]
	v_mul_f64 v[4:5], s[16:17], v[4:5]
	v_fma_f64 v[22:23], s[16:17], v[2:3], -v[22:23]
	v_fmac_f64_e32 v[4:5], s[18:19], v[2:3]
	s_waitcnt vmcnt(0)
	v_mul_f64 v[2:3], s[22:23], v[18:19]
	v_mul_f64 v[18:19], s[20:21], v[18:19]
	v_fma_f64 v[2:3], s[20:21], v[16:17], -v[2:3]
	v_fmac_f64_e32 v[18:19], s[22:23], v[16:17]
	v_add_f64 v[2:3], v[22:23], v[2:3]
	v_add_f64 v[4:5], v[4:5], v[18:19]
	global_store_dwordx4 v[20:21], v[2:5], off
.LBB18_32:
	s_or_b64 exec, exec, s[2:3]
	s_waitcnt lgkmcnt(3)
	ds_bpermute_b32 v2, v7, v14
	s_waitcnt lgkmcnt(3)
	ds_bpermute_b32 v3, v7, v15
	s_waitcnt lgkmcnt(3)
	ds_bpermute_b32 v4, v7, v12
	s_waitcnt lgkmcnt(3)
	ds_bpermute_b32 v5, v7, v13
	v_or_b32_e32 v12, 8, v33
	v_cmp_lt_i32_e64 s[0:1], v12, v32
	;; [unrolled: 35-line block ×3, first 2 shown]
	s_and_b64 s[0:1], vcc, s[0:1]
	s_and_b64 exec, exec, s[0:1]
	s_cbranch_execz .LBB18_36
; %bb.35:
	v_mad_u64_u32 v[8:9], s[0:1], v7, s4, v[0:1]
	v_ashrrev_i32_e32 v9, 31, v8
	v_lshlrev_b64 v[8:9], 4, v[8:9]
	v_add_co_u32_e32 v10, vcc, v1, v8
	v_addc_co_u32_e32 v11, vcc, v6, v9, vcc
	global_load_dwordx4 v[6:9], v[10:11], off
	s_waitcnt lgkmcnt(0)
	v_mul_f64 v[0:1], s[18:19], v[4:5]
	v_mul_f64 v[4:5], s[16:17], v[4:5]
	v_fma_f64 v[0:1], s[16:17], v[2:3], -v[0:1]
	v_fmac_f64_e32 v[4:5], s[18:19], v[2:3]
	s_waitcnt vmcnt(0)
	v_mul_f64 v[2:3], s[22:23], v[8:9]
	v_mul_f64 v[8:9], s[20:21], v[8:9]
	v_fma_f64 v[2:3], s[20:21], v[6:7], -v[2:3]
	v_fmac_f64_e32 v[8:9], s[22:23], v[6:7]
	v_add_f64 v[0:1], v[0:1], v[2:3]
	v_add_f64 v[2:3], v[4:5], v[8:9]
	global_store_dwordx4 v[10:11], v[0:3], off
.LBB18_36:
	s_endpgm
	.section	.rodata,"a",@progbits
	.p2align	6, 0x0
	.amdhsa_kernel _ZN9rocsolver6v33100L16mfma_gemm_kernelI19rocblas_complex_numIdEiS3_PKPS3_S6_S4_EEv18rocblas_operation_S7_T0_S8_S8_T1_T2_lS8_S8_lT3_lS8_S8_lS9_T4_lS8_S8_l
		.amdhsa_group_segment_fixed_size 0
		.amdhsa_private_segment_fixed_size 0
		.amdhsa_kernarg_size 408
		.amdhsa_user_sgpr_count 6
		.amdhsa_user_sgpr_private_segment_buffer 1
		.amdhsa_user_sgpr_dispatch_ptr 0
		.amdhsa_user_sgpr_queue_ptr 0
		.amdhsa_user_sgpr_kernarg_segment_ptr 1
		.amdhsa_user_sgpr_dispatch_id 0
		.amdhsa_user_sgpr_flat_scratch_init 0
		.amdhsa_user_sgpr_kernarg_preload_length 0
		.amdhsa_user_sgpr_kernarg_preload_offset 0
		.amdhsa_user_sgpr_private_segment_size 0
		.amdhsa_uses_dynamic_stack 0
		.amdhsa_system_sgpr_private_segment_wavefront_offset 0
		.amdhsa_system_sgpr_workgroup_id_x 1
		.amdhsa_system_sgpr_workgroup_id_y 1
		.amdhsa_system_sgpr_workgroup_id_z 1
		.amdhsa_system_sgpr_workgroup_info 0
		.amdhsa_system_vgpr_workitem_id 1
		.amdhsa_next_free_vgpr 62
		.amdhsa_next_free_sgpr 37
		.amdhsa_accum_offset 64
		.amdhsa_reserve_vcc 1
		.amdhsa_reserve_flat_scratch 0
		.amdhsa_float_round_mode_32 0
		.amdhsa_float_round_mode_16_64 0
		.amdhsa_float_denorm_mode_32 3
		.amdhsa_float_denorm_mode_16_64 3
		.amdhsa_dx10_clamp 1
		.amdhsa_ieee_mode 1
		.amdhsa_fp16_overflow 0
		.amdhsa_tg_split 0
		.amdhsa_exception_fp_ieee_invalid_op 0
		.amdhsa_exception_fp_denorm_src 0
		.amdhsa_exception_fp_ieee_div_zero 0
		.amdhsa_exception_fp_ieee_overflow 0
		.amdhsa_exception_fp_ieee_underflow 0
		.amdhsa_exception_fp_ieee_inexact 0
		.amdhsa_exception_int_div_zero 0
	.end_amdhsa_kernel
	.section	.text._ZN9rocsolver6v33100L16mfma_gemm_kernelI19rocblas_complex_numIdEiS3_PKPS3_S6_S4_EEv18rocblas_operation_S7_T0_S8_S8_T1_T2_lS8_S8_lT3_lS8_S8_lS9_T4_lS8_S8_l,"axG",@progbits,_ZN9rocsolver6v33100L16mfma_gemm_kernelI19rocblas_complex_numIdEiS3_PKPS3_S6_S4_EEv18rocblas_operation_S7_T0_S8_S8_T1_T2_lS8_S8_lT3_lS8_S8_lS9_T4_lS8_S8_l,comdat
.Lfunc_end18:
	.size	_ZN9rocsolver6v33100L16mfma_gemm_kernelI19rocblas_complex_numIdEiS3_PKPS3_S6_S4_EEv18rocblas_operation_S7_T0_S8_S8_T1_T2_lS8_S8_lT3_lS8_S8_lS9_T4_lS8_S8_l, .Lfunc_end18-_ZN9rocsolver6v33100L16mfma_gemm_kernelI19rocblas_complex_numIdEiS3_PKPS3_S6_S4_EEv18rocblas_operation_S7_T0_S8_S8_T1_T2_lS8_S8_lT3_lS8_S8_lS9_T4_lS8_S8_l
                                        ; -- End function
	.section	.AMDGPU.csdata,"",@progbits
; Kernel info:
; codeLenInByte = 2440
; NumSgprs: 41
; NumVgprs: 62
; NumAgprs: 0
; TotalNumVgprs: 62
; ScratchSize: 0
; MemoryBound: 1
; FloatMode: 240
; IeeeMode: 1
; LDSByteSize: 0 bytes/workgroup (compile time only)
; SGPRBlocks: 5
; VGPRBlocks: 7
; NumSGPRsForWavesPerEU: 41
; NumVGPRsForWavesPerEU: 62
; AccumOffset: 64
; Occupancy: 8
; WaveLimiterHint : 1
; COMPUTE_PGM_RSRC2:SCRATCH_EN: 0
; COMPUTE_PGM_RSRC2:USER_SGPR: 6
; COMPUTE_PGM_RSRC2:TRAP_HANDLER: 0
; COMPUTE_PGM_RSRC2:TGID_X_EN: 1
; COMPUTE_PGM_RSRC2:TGID_Y_EN: 1
; COMPUTE_PGM_RSRC2:TGID_Z_EN: 1
; COMPUTE_PGM_RSRC2:TIDIG_COMP_CNT: 1
; COMPUTE_PGM_RSRC3_GFX90A:ACCUM_OFFSET: 15
; COMPUTE_PGM_RSRC3_GFX90A:TG_SPLIT: 0
	.section	.text._ZN9rocsolver6v33100L11gemm_kernelI19rocblas_complex_numIdEiPKS3_PKPS3_S8_S6_EEvT0_S9_S9_T1_bT2_lS9_S9_lbT3_lS9_S9_lSA_T4_lS9_S9_l,"axG",@progbits,_ZN9rocsolver6v33100L11gemm_kernelI19rocblas_complex_numIdEiPKS3_PKPS3_S8_S6_EEvT0_S9_S9_T1_bT2_lS9_S9_lbT3_lS9_S9_lSA_T4_lS9_S9_l,comdat
	.globl	_ZN9rocsolver6v33100L11gemm_kernelI19rocblas_complex_numIdEiPKS3_PKPS3_S8_S6_EEvT0_S9_S9_T1_bT2_lS9_S9_lbT3_lS9_S9_lSA_T4_lS9_S9_l ; -- Begin function _ZN9rocsolver6v33100L11gemm_kernelI19rocblas_complex_numIdEiPKS3_PKPS3_S8_S6_EEvT0_S9_S9_T1_bT2_lS9_S9_lbT3_lS9_S9_lSA_T4_lS9_S9_l
	.p2align	8
	.type	_ZN9rocsolver6v33100L11gemm_kernelI19rocblas_complex_numIdEiPKS3_PKPS3_S8_S6_EEvT0_S9_S9_T1_bT2_lS9_S9_lbT3_lS9_S9_lSA_T4_lS9_S9_l,@function
_ZN9rocsolver6v33100L11gemm_kernelI19rocblas_complex_numIdEiPKS3_PKPS3_S8_S6_EEvT0_S9_S9_T1_bT2_lS9_S9_lbT3_lS9_S9_lSA_T4_lS9_S9_l: ; @_ZN9rocsolver6v33100L11gemm_kernelI19rocblas_complex_numIdEiPKS3_PKPS3_S8_S6_EEvT0_S9_S9_T1_bT2_lS9_S9_lbT3_lS9_S9_lSA_T4_lS9_S9_l
; %bb.0:
	s_load_dword s0, s[4:5], 0x9c
	s_load_dwordx4 s[16:19], s[4:5], 0x0
	v_and_b32_e32 v1, 0x3ff, v0
	v_bfe_u32 v0, v0, 10, 10
	s_waitcnt lgkmcnt(0)
	s_lshr_b32 s1, s0, 16
	s_and_b32 s0, s0, 0xffff
	s_mul_i32 s6, s6, s0
	s_mul_i32 s7, s7, s1
	v_add_u32_e32 v8, s6, v1
	v_add_u32_e32 v9, s7, v0
	v_cmp_gt_i32_e32 vcc, s16, v8
	v_cmp_gt_i32_e64 s[0:1], s17, v9
	s_and_b64 s[0:1], vcc, s[0:1]
	s_and_saveexec_b64 s[2:3], s[0:1]
	s_cbranch_execz .LBB19_5
; %bb.1:
	s_load_dwordx2 s[6:7], s[4:5], 0x78
	s_load_dwordx2 s[10:11], s[4:5], 0x10
	s_load_dwordx4 s[12:15], s[4:5], 0x68
	s_ashr_i32 s9, s8, 31
	v_pk_mov_b32 v[0:1], 0, 0
	s_cmp_lt_i32 s18, 1
	v_pk_mov_b32 v[2:3], v[0:1], v[0:1] op_sel:[0,1]
	s_cbranch_scc1 .LBB19_4
; %bb.2:
	s_load_dword s19, s[4:5], 0x18
	s_load_dwordx4 s[0:3], s[4:5], 0x20
	s_load_dwordx2 s[16:17], s[4:5], 0x30
	s_load_dword s30, s[4:5], 0x40
	s_load_dwordx4 s[20:23], s[4:5], 0x48
	s_lshl_b64 s[24:25], s[8:9], 3
	s_waitcnt lgkmcnt(0)
	s_add_u32 s0, s0, s24
	s_addc_u32 s1, s1, s25
	s_load_dwordx2 s[26:27], s[0:1], 0x0
	s_load_dwordx2 s[28:29], s[4:5], 0x58
	s_add_u32 s0, s20, s24
	s_addc_u32 s1, s21, s25
	s_bitcmp1_b32 s19, 0
	s_cselect_b64 vcc, -1, 0
	s_bitcmp1_b32 s30, 0
	s_load_dwordx2 s[20:21], s[0:1], 0x0
	s_cselect_b64 s[0:1], -1, 0
	v_mul_lo_u32 v0, v8, s16
	s_lshl_b64 s[2:3], s[2:3], 4
	v_ashrrev_i32_e32 v1, 31, v0
	s_waitcnt lgkmcnt(0)
	s_add_u32 s2, s26, s2
	v_lshlrev_b64 v[0:1], 4, v[0:1]
	s_addc_u32 s3, s27, s3
	v_mov_b32_e32 v3, s3
	v_add_co_u32_e64 v0, s[2:3], s2, v0
	v_addc_co_u32_e64 v1, s[2:3], v3, v1, s[2:3]
	v_add_co_u32_e64 v4, s[2:3], 8, v0
	v_addc_co_u32_e64 v5, s[2:3], 0, v1, s[2:3]
	s_ashr_i32 s3, s17, 31
	s_mov_b32 s2, s17
	v_mul_lo_u32 v2, v9, s29
	s_lshl_b64 s[16:17], s[2:3], 4
	s_lshl_b64 s[2:3], s[22:23], 4
	v_ashrrev_i32_e32 v3, 31, v2
	s_add_u32 s2, s20, s2
	v_lshlrev_b64 v[0:1], 4, v[2:3]
	s_addc_u32 s3, s21, s3
	v_mov_b32_e32 v2, s3
	v_add_co_u32_e64 v0, s[2:3], s2, v0
	v_addc_co_u32_e64 v1, s[2:3], v2, v1, s[2:3]
	v_add_co_u32_e64 v6, s[2:3], 8, v0
	s_ashr_i32 s29, s28, 31
	v_addc_co_u32_e64 v7, s[2:3], 0, v1, s[2:3]
	s_lshl_b64 s[20:21], s[28:29], 4
	v_pk_mov_b32 v[0:1], 0, 0
	v_mov_b32_e32 v10, s17
	v_mov_b32_e32 v11, s21
	v_pk_mov_b32 v[2:3], v[0:1], v[0:1] op_sel:[0,1]
.LBB19_3:                               ; =>This Inner Loop Header: Depth=1
	global_load_dwordx4 v[12:15], v[4:5], off offset:-8
	global_load_dwordx4 v[16:19], v[6:7], off offset:-8
	v_add_co_u32_e64 v4, s[2:3], s16, v4
	v_addc_co_u32_e64 v5, s[2:3], v5, v10, s[2:3]
	s_add_i32 s18, s18, -1
	v_add_co_u32_e64 v6, s[2:3], s20, v6
	v_addc_co_u32_e64 v7, s[2:3], v7, v11, s[2:3]
	s_cmp_eq_u32 s18, 0
	s_waitcnt vmcnt(1)
	v_xor_b32_e32 v20, 0x80000000, v15
	s_waitcnt vmcnt(0)
	v_xor_b32_e32 v21, 0x80000000, v19
	v_cndmask_b32_e32 v15, v15, v20, vcc
	v_cndmask_b32_e64 v19, v19, v21, s[0:1]
	v_mul_f64 v[20:21], v[14:15], v[18:19]
	v_mul_f64 v[14:15], v[14:15], v[16:17]
	v_fma_f64 v[16:17], v[12:13], v[16:17], -v[20:21]
	v_fmac_f64_e32 v[14:15], v[12:13], v[18:19]
	v_add_f64 v[2:3], v[2:3], v[16:17]
	v_add_f64 v[0:1], v[0:1], v[14:15]
	s_cbranch_scc0 .LBB19_3
.LBB19_4:
	s_waitcnt lgkmcnt(0)
	s_load_dwordx4 s[16:19], s[10:11], 0x0
	s_load_dwordx4 s[0:3], s[12:13], 0x0
                                        ; kill: killed $sgpr12_sgpr13
                                        ; kill: killed $sgpr10_sgpr11
	s_load_dwordx4 s[20:23], s[4:5], 0x80
	s_waitcnt lgkmcnt(0)
	v_mul_f64 v[10:11], s[18:19], v[0:1]
	v_mul_f64 v[12:13], s[16:17], v[0:1]
	v_fma_f64 v[0:1], s[16:17], v[2:3], -v[10:11]
	v_fmac_f64_e32 v[12:13], s[18:19], v[2:3]
	s_mul_i32 s5, s8, s23
	s_mul_hi_u32 s10, s8, s22
	s_mul_i32 s9, s9, s22
	s_add_i32 s5, s10, s5
	s_mul_i32 s4, s8, s22
	s_add_i32 s5, s5, s9
	s_lshl_b64 s[4:5], s[4:5], 4
	s_add_u32 s8, s14, s4
	s_addc_u32 s9, s15, s5
	s_lshl_b64 s[4:5], s[6:7], 4
	s_add_u32 s6, s8, s4
	v_mul_lo_u32 v4, v8, s20
	s_addc_u32 s7, s9, s5
	v_mad_u64_u32 v[4:5], s[4:5], v9, s21, v[4:5]
	v_ashrrev_i32_e32 v5, 31, v4
	v_lshlrev_b64 v[4:5], 4, v[4:5]
	v_mov_b32_e32 v6, s7
	v_add_co_u32_e32 v8, vcc, s6, v4
	v_addc_co_u32_e32 v9, vcc, v6, v5, vcc
	global_load_dwordx4 v[4:7], v[8:9], off
	s_waitcnt vmcnt(0)
	v_mul_f64 v[2:3], s[2:3], v[6:7]
	v_mul_f64 v[6:7], s[0:1], v[6:7]
	v_fma_f64 v[2:3], s[0:1], v[4:5], -v[2:3]
	v_fmac_f64_e32 v[6:7], s[2:3], v[4:5]
	v_add_f64 v[0:1], v[0:1], v[2:3]
	v_add_f64 v[2:3], v[12:13], v[6:7]
	global_store_dwordx4 v[8:9], v[0:3], off
.LBB19_5:
	s_endpgm
	.section	.rodata,"a",@progbits
	.p2align	6, 0x0
	.amdhsa_kernel _ZN9rocsolver6v33100L11gemm_kernelI19rocblas_complex_numIdEiPKS3_PKPS3_S8_S6_EEvT0_S9_S9_T1_bT2_lS9_S9_lbT3_lS9_S9_lSA_T4_lS9_S9_l
		.amdhsa_group_segment_fixed_size 0
		.amdhsa_private_segment_fixed_size 0
		.amdhsa_kernarg_size 400
		.amdhsa_user_sgpr_count 6
		.amdhsa_user_sgpr_private_segment_buffer 1
		.amdhsa_user_sgpr_dispatch_ptr 0
		.amdhsa_user_sgpr_queue_ptr 0
		.amdhsa_user_sgpr_kernarg_segment_ptr 1
		.amdhsa_user_sgpr_dispatch_id 0
		.amdhsa_user_sgpr_flat_scratch_init 0
		.amdhsa_user_sgpr_kernarg_preload_length 0
		.amdhsa_user_sgpr_kernarg_preload_offset 0
		.amdhsa_user_sgpr_private_segment_size 0
		.amdhsa_uses_dynamic_stack 0
		.amdhsa_system_sgpr_private_segment_wavefront_offset 0
		.amdhsa_system_sgpr_workgroup_id_x 1
		.amdhsa_system_sgpr_workgroup_id_y 1
		.amdhsa_system_sgpr_workgroup_id_z 1
		.amdhsa_system_sgpr_workgroup_info 0
		.amdhsa_system_vgpr_workitem_id 1
		.amdhsa_next_free_vgpr 22
		.amdhsa_next_free_sgpr 31
		.amdhsa_accum_offset 24
		.amdhsa_reserve_vcc 1
		.amdhsa_reserve_flat_scratch 0
		.amdhsa_float_round_mode_32 0
		.amdhsa_float_round_mode_16_64 0
		.amdhsa_float_denorm_mode_32 3
		.amdhsa_float_denorm_mode_16_64 3
		.amdhsa_dx10_clamp 1
		.amdhsa_ieee_mode 1
		.amdhsa_fp16_overflow 0
		.amdhsa_tg_split 0
		.amdhsa_exception_fp_ieee_invalid_op 0
		.amdhsa_exception_fp_denorm_src 0
		.amdhsa_exception_fp_ieee_div_zero 0
		.amdhsa_exception_fp_ieee_overflow 0
		.amdhsa_exception_fp_ieee_underflow 0
		.amdhsa_exception_fp_ieee_inexact 0
		.amdhsa_exception_int_div_zero 0
	.end_amdhsa_kernel
	.section	.text._ZN9rocsolver6v33100L11gemm_kernelI19rocblas_complex_numIdEiPKS3_PKPS3_S8_S6_EEvT0_S9_S9_T1_bT2_lS9_S9_lbT3_lS9_S9_lSA_T4_lS9_S9_l,"axG",@progbits,_ZN9rocsolver6v33100L11gemm_kernelI19rocblas_complex_numIdEiPKS3_PKPS3_S8_S6_EEvT0_S9_S9_T1_bT2_lS9_S9_lbT3_lS9_S9_lSA_T4_lS9_S9_l,comdat
.Lfunc_end19:
	.size	_ZN9rocsolver6v33100L11gemm_kernelI19rocblas_complex_numIdEiPKS3_PKPS3_S8_S6_EEvT0_S9_S9_T1_bT2_lS9_S9_lbT3_lS9_S9_lSA_T4_lS9_S9_l, .Lfunc_end19-_ZN9rocsolver6v33100L11gemm_kernelI19rocblas_complex_numIdEiPKS3_PKPS3_S8_S6_EEvT0_S9_S9_T1_bT2_lS9_S9_lbT3_lS9_S9_lSA_T4_lS9_S9_l
                                        ; -- End function
	.section	.AMDGPU.csdata,"",@progbits
; Kernel info:
; codeLenInByte = 784
; NumSgprs: 35
; NumVgprs: 22
; NumAgprs: 0
; TotalNumVgprs: 22
; ScratchSize: 0
; MemoryBound: 0
; FloatMode: 240
; IeeeMode: 1
; LDSByteSize: 0 bytes/workgroup (compile time only)
; SGPRBlocks: 4
; VGPRBlocks: 2
; NumSGPRsForWavesPerEU: 35
; NumVGPRsForWavesPerEU: 22
; AccumOffset: 24
; Occupancy: 8
; WaveLimiterHint : 1
; COMPUTE_PGM_RSRC2:SCRATCH_EN: 0
; COMPUTE_PGM_RSRC2:USER_SGPR: 6
; COMPUTE_PGM_RSRC2:TRAP_HANDLER: 0
; COMPUTE_PGM_RSRC2:TGID_X_EN: 1
; COMPUTE_PGM_RSRC2:TGID_Y_EN: 1
; COMPUTE_PGM_RSRC2:TGID_Z_EN: 1
; COMPUTE_PGM_RSRC2:TIDIG_COMP_CNT: 1
; COMPUTE_PGM_RSRC3_GFX90A:ACCUM_OFFSET: 5
; COMPUTE_PGM_RSRC3_GFX90A:TG_SPLIT: 0
	.section	.text._ZN9rocsolver6v33100L11gemm_kernelI19rocblas_complex_numIdEiS3_PKPS3_S6_S4_EEvT0_S7_S7_T1_bT2_lS7_S7_lbT3_lS7_S7_lS8_T4_lS7_S7_l,"axG",@progbits,_ZN9rocsolver6v33100L11gemm_kernelI19rocblas_complex_numIdEiS3_PKPS3_S6_S4_EEvT0_S7_S7_T1_bT2_lS7_S7_lbT3_lS7_S7_lS8_T4_lS7_S7_l,comdat
	.globl	_ZN9rocsolver6v33100L11gemm_kernelI19rocblas_complex_numIdEiS3_PKPS3_S6_S4_EEvT0_S7_S7_T1_bT2_lS7_S7_lbT3_lS7_S7_lS8_T4_lS7_S7_l ; -- Begin function _ZN9rocsolver6v33100L11gemm_kernelI19rocblas_complex_numIdEiS3_PKPS3_S6_S4_EEvT0_S7_S7_T1_bT2_lS7_S7_lbT3_lS7_S7_lS8_T4_lS7_S7_l
	.p2align	8
	.type	_ZN9rocsolver6v33100L11gemm_kernelI19rocblas_complex_numIdEiS3_PKPS3_S6_S4_EEvT0_S7_S7_T1_bT2_lS7_S7_lbT3_lS7_S7_lS8_T4_lS7_S7_l,@function
_ZN9rocsolver6v33100L11gemm_kernelI19rocblas_complex_numIdEiS3_PKPS3_S6_S4_EEvT0_S7_S7_T1_bT2_lS7_S7_lbT3_lS7_S7_lS8_T4_lS7_S7_l: ; @_ZN9rocsolver6v33100L11gemm_kernelI19rocblas_complex_numIdEiS3_PKPS3_S6_S4_EEvT0_S7_S7_T1_bT2_lS7_S7_lbT3_lS7_S7_lS8_T4_lS7_S7_l
; %bb.0:
	s_load_dword s0, s[4:5], 0xac
	s_load_dwordx4 s[12:15], s[4:5], 0x0
	v_and_b32_e32 v1, 0x3ff, v0
	v_bfe_u32 v0, v0, 10, 10
	s_waitcnt lgkmcnt(0)
	s_lshr_b32 s1, s0, 16
	s_and_b32 s0, s0, 0xffff
	s_mul_i32 s6, s6, s0
	s_mul_i32 s7, s7, s1
	v_add_u32_e32 v8, s6, v1
	v_add_u32_e32 v9, s7, v0
	v_cmp_gt_i32_e32 vcc, s12, v8
	v_cmp_gt_i32_e64 s[0:1], s13, v9
	s_and_b64 s[0:1], vcc, s[0:1]
	s_and_saveexec_b64 s[2:3], s[0:1]
	s_cbranch_execz .LBB20_5
; %bb.1:
	s_ashr_i32 s9, s8, 31
	v_pk_mov_b32 v[0:1], 0, 0
	s_cmp_lt_i32 s14, 1
	v_pk_mov_b32 v[2:3], v[0:1], v[0:1] op_sel:[0,1]
	s_cbranch_scc1 .LBB20_4
; %bb.2:
	s_load_dword s15, s[4:5], 0x20
	s_load_dwordx4 s[0:3], s[4:5], 0x28
	s_load_dwordx2 s[6:7], s[4:5], 0x38
	s_load_dword s22, s[4:5], 0x48
	s_load_dwordx4 s[16:19], s[4:5], 0x50
	s_lshl_b64 s[10:11], s[8:9], 3
	s_waitcnt lgkmcnt(0)
	s_add_u32 s0, s0, s10
	s_addc_u32 s1, s1, s11
	s_load_dwordx2 s[12:13], s[0:1], 0x0
	s_load_dwordx2 s[20:21], s[4:5], 0x60
	s_add_u32 s0, s16, s10
	s_addc_u32 s1, s17, s11
	s_bitcmp1_b32 s15, 0
	s_cselect_b64 vcc, -1, 0
	s_bitcmp1_b32 s22, 0
	s_load_dwordx2 s[10:11], s[0:1], 0x0
	s_cselect_b64 s[0:1], -1, 0
	v_mul_lo_u32 v0, v8, s6
	s_lshl_b64 s[2:3], s[2:3], 4
	v_ashrrev_i32_e32 v1, 31, v0
	s_waitcnt lgkmcnt(0)
	s_add_u32 s2, s12, s2
	v_lshlrev_b64 v[0:1], 4, v[0:1]
	s_addc_u32 s3, s13, s3
	v_mov_b32_e32 v3, s3
	v_add_co_u32_e64 v0, s[2:3], s2, v0
	v_addc_co_u32_e64 v1, s[2:3], v3, v1, s[2:3]
	v_add_co_u32_e64 v4, s[2:3], 8, v0
	v_addc_co_u32_e64 v5, s[2:3], 0, v1, s[2:3]
	s_ashr_i32 s3, s7, 31
	s_mov_b32 s2, s7
	v_mul_lo_u32 v2, v9, s21
	s_lshl_b64 s[6:7], s[2:3], 4
	s_lshl_b64 s[2:3], s[18:19], 4
	v_ashrrev_i32_e32 v3, 31, v2
	s_add_u32 s2, s10, s2
	v_lshlrev_b64 v[0:1], 4, v[2:3]
	s_addc_u32 s3, s11, s3
	v_mov_b32_e32 v2, s3
	v_add_co_u32_e64 v0, s[2:3], s2, v0
	v_addc_co_u32_e64 v1, s[2:3], v2, v1, s[2:3]
	v_add_co_u32_e64 v6, s[2:3], 8, v0
	s_ashr_i32 s21, s20, 31
	v_addc_co_u32_e64 v7, s[2:3], 0, v1, s[2:3]
	s_lshl_b64 s[10:11], s[20:21], 4
	v_pk_mov_b32 v[0:1], 0, 0
	v_mov_b32_e32 v10, s7
	v_mov_b32_e32 v11, s11
	v_pk_mov_b32 v[2:3], v[0:1], v[0:1] op_sel:[0,1]
.LBB20_3:                               ; =>This Inner Loop Header: Depth=1
	global_load_dwordx4 v[12:15], v[4:5], off offset:-8
	global_load_dwordx4 v[16:19], v[6:7], off offset:-8
	v_add_co_u32_e64 v4, s[2:3], s6, v4
	v_addc_co_u32_e64 v5, s[2:3], v5, v10, s[2:3]
	s_add_i32 s14, s14, -1
	v_add_co_u32_e64 v6, s[2:3], s10, v6
	v_addc_co_u32_e64 v7, s[2:3], v7, v11, s[2:3]
	s_cmp_eq_u32 s14, 0
	s_waitcnt vmcnt(1)
	v_xor_b32_e32 v20, 0x80000000, v15
	s_waitcnt vmcnt(0)
	v_xor_b32_e32 v21, 0x80000000, v19
	v_cndmask_b32_e32 v15, v15, v20, vcc
	v_cndmask_b32_e64 v19, v19, v21, s[0:1]
	v_mul_f64 v[20:21], v[14:15], v[18:19]
	v_mul_f64 v[14:15], v[14:15], v[16:17]
	v_fma_f64 v[16:17], v[12:13], v[16:17], -v[20:21]
	v_fmac_f64_e32 v[14:15], v[12:13], v[18:19]
	v_add_f64 v[2:3], v[2:3], v[16:17]
	v_add_f64 v[0:1], v[0:1], v[14:15]
	s_cbranch_scc0 .LBB20_3
.LBB20_4:
	s_load_dwordx8 s[12:19], s[4:5], 0x70
	s_load_dwordx4 s[0:3], s[4:5], 0x10
	s_nop 0
	s_load_dwordx4 s[4:7], s[4:5], 0x90
	s_waitcnt lgkmcnt(0)
	v_mul_f64 v[10:11], s[2:3], v[0:1]
	s_mul_i32 s7, s8, s7
	s_mul_hi_u32 s10, s8, s6
	s_mul_i32 s9, s9, s6
	s_add_i32 s7, s10, s7
	s_mul_i32 s6, s8, s6
	s_add_i32 s7, s7, s9
	s_lshl_b64 s[6:7], s[6:7], 4
	s_add_u32 s8, s16, s6
	v_mul_lo_u32 v4, v8, s4
	s_addc_u32 s9, s17, s7
	s_lshl_b64 s[6:7], s[18:19], 4
	v_mad_u64_u32 v[4:5], s[4:5], v9, s5, v[4:5]
	s_add_u32 s6, s8, s6
	v_ashrrev_i32_e32 v5, 31, v4
	s_addc_u32 s7, s9, s7
	v_lshlrev_b64 v[4:5], 4, v[4:5]
	v_mov_b32_e32 v6, s7
	v_add_co_u32_e32 v8, vcc, s6, v4
	v_addc_co_u32_e32 v9, vcc, v6, v5, vcc
	global_load_dwordx4 v[4:7], v[8:9], off
	v_mul_f64 v[12:13], s[0:1], v[0:1]
	v_fma_f64 v[0:1], s[0:1], v[2:3], -v[10:11]
	v_fmac_f64_e32 v[12:13], s[2:3], v[2:3]
	s_waitcnt vmcnt(0)
	v_mul_f64 v[2:3], s[14:15], v[6:7]
	v_mul_f64 v[6:7], s[12:13], v[6:7]
	v_fma_f64 v[2:3], s[12:13], v[4:5], -v[2:3]
	v_fmac_f64_e32 v[6:7], s[14:15], v[4:5]
	v_add_f64 v[0:1], v[0:1], v[2:3]
	v_add_f64 v[2:3], v[12:13], v[6:7]
	global_store_dwordx4 v[8:9], v[0:3], off
.LBB20_5:
	s_endpgm
	.section	.rodata,"a",@progbits
	.p2align	6, 0x0
	.amdhsa_kernel _ZN9rocsolver6v33100L11gemm_kernelI19rocblas_complex_numIdEiS3_PKPS3_S6_S4_EEvT0_S7_S7_T1_bT2_lS7_S7_lbT3_lS7_S7_lS8_T4_lS7_S7_l
		.amdhsa_group_segment_fixed_size 0
		.amdhsa_private_segment_fixed_size 0
		.amdhsa_kernarg_size 416
		.amdhsa_user_sgpr_count 6
		.amdhsa_user_sgpr_private_segment_buffer 1
		.amdhsa_user_sgpr_dispatch_ptr 0
		.amdhsa_user_sgpr_queue_ptr 0
		.amdhsa_user_sgpr_kernarg_segment_ptr 1
		.amdhsa_user_sgpr_dispatch_id 0
		.amdhsa_user_sgpr_flat_scratch_init 0
		.amdhsa_user_sgpr_kernarg_preload_length 0
		.amdhsa_user_sgpr_kernarg_preload_offset 0
		.amdhsa_user_sgpr_private_segment_size 0
		.amdhsa_uses_dynamic_stack 0
		.amdhsa_system_sgpr_private_segment_wavefront_offset 0
		.amdhsa_system_sgpr_workgroup_id_x 1
		.amdhsa_system_sgpr_workgroup_id_y 1
		.amdhsa_system_sgpr_workgroup_id_z 1
		.amdhsa_system_sgpr_workgroup_info 0
		.amdhsa_system_vgpr_workitem_id 1
		.amdhsa_next_free_vgpr 22
		.amdhsa_next_free_sgpr 23
		.amdhsa_accum_offset 24
		.amdhsa_reserve_vcc 1
		.amdhsa_reserve_flat_scratch 0
		.amdhsa_float_round_mode_32 0
		.amdhsa_float_round_mode_16_64 0
		.amdhsa_float_denorm_mode_32 3
		.amdhsa_float_denorm_mode_16_64 3
		.amdhsa_dx10_clamp 1
		.amdhsa_ieee_mode 1
		.amdhsa_fp16_overflow 0
		.amdhsa_tg_split 0
		.amdhsa_exception_fp_ieee_invalid_op 0
		.amdhsa_exception_fp_denorm_src 0
		.amdhsa_exception_fp_ieee_div_zero 0
		.amdhsa_exception_fp_ieee_overflow 0
		.amdhsa_exception_fp_ieee_underflow 0
		.amdhsa_exception_fp_ieee_inexact 0
		.amdhsa_exception_int_div_zero 0
	.end_amdhsa_kernel
	.section	.text._ZN9rocsolver6v33100L11gemm_kernelI19rocblas_complex_numIdEiS3_PKPS3_S6_S4_EEvT0_S7_S7_T1_bT2_lS7_S7_lbT3_lS7_S7_lS8_T4_lS7_S7_l,"axG",@progbits,_ZN9rocsolver6v33100L11gemm_kernelI19rocblas_complex_numIdEiS3_PKPS3_S6_S4_EEvT0_S7_S7_T1_bT2_lS7_S7_lbT3_lS7_S7_lS8_T4_lS7_S7_l,comdat
.Lfunc_end20:
	.size	_ZN9rocsolver6v33100L11gemm_kernelI19rocblas_complex_numIdEiS3_PKPS3_S6_S4_EEvT0_S7_S7_T1_bT2_lS7_S7_lbT3_lS7_S7_lS8_T4_lS7_S7_l, .Lfunc_end20-_ZN9rocsolver6v33100L11gemm_kernelI19rocblas_complex_numIdEiS3_PKPS3_S6_S4_EEvT0_S7_S7_T1_bT2_lS7_S7_lbT3_lS7_S7_lS8_T4_lS7_S7_l
                                        ; -- End function
	.section	.AMDGPU.csdata,"",@progbits
; Kernel info:
; codeLenInByte = 760
; NumSgprs: 27
; NumVgprs: 22
; NumAgprs: 0
; TotalNumVgprs: 22
; ScratchSize: 0
; MemoryBound: 0
; FloatMode: 240
; IeeeMode: 1
; LDSByteSize: 0 bytes/workgroup (compile time only)
; SGPRBlocks: 3
; VGPRBlocks: 2
; NumSGPRsForWavesPerEU: 27
; NumVGPRsForWavesPerEU: 22
; AccumOffset: 24
; Occupancy: 8
; WaveLimiterHint : 1
; COMPUTE_PGM_RSRC2:SCRATCH_EN: 0
; COMPUTE_PGM_RSRC2:USER_SGPR: 6
; COMPUTE_PGM_RSRC2:TRAP_HANDLER: 0
; COMPUTE_PGM_RSRC2:TGID_X_EN: 1
; COMPUTE_PGM_RSRC2:TGID_Y_EN: 1
; COMPUTE_PGM_RSRC2:TGID_Z_EN: 1
; COMPUTE_PGM_RSRC2:TIDIG_COMP_CNT: 1
; COMPUTE_PGM_RSRC3_GFX90A:ACCUM_OFFSET: 5
; COMPUTE_PGM_RSRC3_GFX90A:TG_SPLIT: 0
	.section	.text._ZN9rocsolver6v33100L16mfma_gemm_kernelI19rocblas_complex_numIdEiPKS3_PKPS3_S6_S6_EEv18rocblas_operation_S9_T0_SA_SA_T1_T2_lSA_SA_lT3_lSA_SA_lSB_T4_lSA_SA_l,"axG",@progbits,_ZN9rocsolver6v33100L16mfma_gemm_kernelI19rocblas_complex_numIdEiPKS3_PKPS3_S6_S6_EEv18rocblas_operation_S9_T0_SA_SA_T1_T2_lSA_SA_lT3_lSA_SA_lSB_T4_lSA_SA_l,comdat
	.globl	_ZN9rocsolver6v33100L16mfma_gemm_kernelI19rocblas_complex_numIdEiPKS3_PKPS3_S6_S6_EEv18rocblas_operation_S9_T0_SA_SA_T1_T2_lSA_SA_lT3_lSA_SA_lSB_T4_lSA_SA_l ; -- Begin function _ZN9rocsolver6v33100L16mfma_gemm_kernelI19rocblas_complex_numIdEiPKS3_PKPS3_S6_S6_EEv18rocblas_operation_S9_T0_SA_SA_T1_T2_lSA_SA_lT3_lSA_SA_lSB_T4_lSA_SA_l
	.p2align	8
	.type	_ZN9rocsolver6v33100L16mfma_gemm_kernelI19rocblas_complex_numIdEiPKS3_PKPS3_S6_S6_EEv18rocblas_operation_S9_T0_SA_SA_T1_T2_lSA_SA_lT3_lSA_SA_lSB_T4_lSA_SA_l,@function
_ZN9rocsolver6v33100L16mfma_gemm_kernelI19rocblas_complex_numIdEiPKS3_PKPS3_S6_S6_EEv18rocblas_operation_S9_T0_SA_SA_T1_T2_lSA_SA_lT3_lSA_SA_lSB_T4_lSA_SA_l: ; @_ZN9rocsolver6v33100L16mfma_gemm_kernelI19rocblas_complex_numIdEiPKS3_PKPS3_S6_S6_EEv18rocblas_operation_S9_T0_SA_SA_T1_T2_lSA_SA_lT3_lSA_SA_lSB_T4_lSA_SA_l
; %bb.0:
	s_load_dword s0, s[4:5], 0x94
	s_load_dwordx4 s[28:31], s[4:5], 0x0
	v_and_b32_e32 v34, 0x3ff, v0
	v_bfe_u32 v0, v0, 10, 10
	v_lshrrev_b32_e32 v1, 6, v34
	s_waitcnt lgkmcnt(0)
	s_lshr_b32 s1, s0, 16
	s_bfe_u32 s0, s0, 0xa0006
	s_mul_i32 s7, s7, s1
	s_mul_i32 s6, s6, s0
	v_add_u32_e32 v0, s7, v0
	v_add_lshl_u32 v35, s6, v1, 4
	v_lshlrev_b32_e32 v36, 4, v0
	v_cmp_gt_i32_e32 vcc, s30, v35
	v_cmp_gt_i32_e64 s[0:1], s31, v36
	s_and_b64 s[0:1], vcc, s[0:1]
	s_and_saveexec_b64 s[2:3], s[0:1]
	s_cbranch_execz .LBB21_36
; %bb.1:
	s_ashr_i32 s6, s30, 31
	s_lshr_b32 s6, s6, 28
	s_add_i32 s6, s30, s6
	s_load_dword s33, s[4:5], 0x10
	s_load_dwordx4 s[0:3], s[4:5], 0x18
	s_load_dwordx8 s[12:19], s[4:5], 0x58
	s_and_b32 s6, s6, -16
	s_sub_i32 s6, s30, s6
	v_mov_b32_e32 v1, s6
	s_ashr_i32 s6, s31, 31
	s_lshr_b32 s6, s6, 28
	s_add_i32 s6, s31, s6
	v_add_u32_e32 v0, 16, v35
	s_and_b32 s6, s6, -16
	s_waitcnt lgkmcnt(0)
	s_load_dwordx4 s[24:27], s[0:1], 0x0
	s_load_dwordx4 s[20:23], s[14:15], 0x0
	v_cmp_lt_i32_e32 vcc, s30, v0
	v_add_u32_e32 v0, 16, v36
	s_sub_i32 s6, s31, s6
	v_cndmask_b32_e32 v32, 16, v1, vcc
	v_mov_b32_e32 v1, s6
	v_cmp_lt_i32_e32 vcc, s31, v0
	v_cndmask_b32_e32 v37, 16, v1, vcc
	s_ashr_i32 s9, s8, 31
	v_bfe_u32 v38, v34, 2, 4
	v_pk_mov_b32 v[20:21], 0, 0
	v_and_b32_e32 v33, 3, v34
	s_cmp_lt_i32 s33, 1
	v_cmp_lt_i32_e64 s[0:1], v38, v37
	v_mbcnt_lo_u32_b32 v39, -1, 0
	v_pk_mov_b32 v[22:23], v[20:21], v[20:21] op_sel:[0,1]
	v_pk_mov_b32 v[8:9], v[20:21], v[20:21] op_sel:[0,1]
	;; [unrolled: 1-line block ×7, first 2 shown]
	s_cbranch_scc1 .LBB21_28
; %bb.2:
	s_lshl_b64 s[6:7], s[8:9], 3
	s_add_u32 s2, s2, s6
	s_addc_u32 s3, s3, s7
	s_load_dwordx4 s[36:39], s[4:5], 0x28
	s_load_dwordx2 s[6:7], s[2:3], 0x0
	s_load_dwordx4 s[40:43], s[4:5], 0x40
	s_load_dwordx2 s[44:45], s[4:5], 0x50
	v_and_b32_e32 v2, 63, v34
	v_lshrrev_b32_e32 v44, 4, v2
	s_waitcnt lgkmcnt(0)
	s_lshl_b64 s[2:3], s[36:37], 4
	s_add_u32 s6, s6, s2
	s_addc_u32 s7, s7, s3
	s_mul_i32 s2, s8, s13
	s_mul_hi_u32 s3, s8, s12
	s_add_i32 s2, s3, s2
	s_mul_i32 s3, s9, s12
	s_add_i32 s3, s2, s3
	s_mul_i32 s2, s8, s12
	s_lshl_b64 s[2:3], s[2:3], 4
	s_add_u32 s10, s40, s2
	s_addc_u32 s11, s41, s3
	s_lshl_b64 s[2:3], s[42:43], 4
	s_add_u32 s2, s10, s2
	s_addc_u32 s3, s11, s3
	s_cmpk_lg_i32 s28, 0x6f
	s_cselect_b64 s[30:31], -1, 0
	s_cmpk_eq_i32 s28, 0x6f
	s_cselect_b32 s10, s38, s39
	v_mul_lo_u32 v0, v35, s10
	v_ashrrev_i32_e32 v1, 31, v0
	s_cmpk_lg_i32 s29, 0x6f
	v_lshlrev_b64 v[0:1], 4, v[0:1]
	s_cselect_b64 s[34:35], -1, 0
	s_cmpk_eq_i32 s29, 0x6f
	v_add_co_u32_e32 v40, vcc, s6, v0
	s_cselect_b32 s6, s45, s44
	v_mov_b32_e32 v3, s7
	v_mul_lo_u32 v0, v36, s6
	v_addc_co_u32_e32 v41, vcc, v3, v1, vcc
	v_ashrrev_i32_e32 v1, 31, v0
	v_lshlrev_b64 v[0:1], 4, v[0:1]
	v_mov_b32_e32 v3, s3
	v_add_co_u32_e32 v42, vcc, s2, v0
	v_addc_co_u32_e32 v43, vcc, v3, v1, vcc
	v_and_b32_e32 v1, 15, v34
	v_mul_lo_u32 v0, v1, s38
	s_cmpk_eq_i32 s28, 0x71
	s_cselect_b64 s[12:13], -1, 0
	s_cmpk_eq_i32 s29, 0x71
	v_mad_u64_u32 v[24:25], s[28:29], s39, v44, v[0:1]
	v_mul_lo_u32 v0, s38, v33
	v_mad_u64_u32 v[26:27], s[28:29], v38, s39, v[0:1]
	v_mul_lo_u32 v0, s44, v33
	v_lshl_or_b32 v3, v1, 2, v44
	v_mad_u64_u32 v[28:29], s[28:29], v38, s45, v[0:1]
	v_mbcnt_hi_u32_b32 v0, -1, v39
	v_mul_lo_u32 v2, v1, s44
	v_pk_mov_b32 v[8:9], 0, 0
	v_and_or_b32 v0, v0, 64, v3
	v_cmp_lt_i32_e64 s[2:3], v38, v32
	v_cmp_lt_i32_e64 s[6:7], v1, v32
	v_cmp_lt_i32_e64 s[10:11], v1, v37
	s_cselect_b64 s[14:15], -1, 0
	s_lshl_b32 s40, s39, 2
	s_lshl_b32 s41, s38, 2
	;; [unrolled: 1-line block ×3, first 2 shown]
	v_mad_u64_u32 v[30:31], s[28:29], s45, v44, v[2:3]
	s_lshl_b32 s43, s45, 2
	s_mov_b32 s44, 0
	v_lshlrev_b32_e32 v45, 2, v0
	v_pk_mov_b32 v[12:13], v[8:9], v[8:9] op_sel:[0,1]
	v_pk_mov_b32 v[16:17], v[8:9], v[8:9] op_sel:[0,1]
	;; [unrolled: 1-line block ×7, first 2 shown]
	s_branch .LBB21_6
.LBB21_3:                               ;   in Loop: Header=BB21_6 Depth=1
	s_or_b64 exec, exec, s[36:37]
.LBB21_4:                               ;   in Loop: Header=BB21_6 Depth=1
	s_or_b64 exec, exec, s[28:29]
	s_waitcnt vmcnt(0)
	ds_bpermute_b32 v4, v45, v4
	ds_bpermute_b32 v5, v45, v5
	;; [unrolled: 1-line block ×4, first 2 shown]
.LBB21_5:                               ;   in Loop: Header=BB21_6 Depth=1
	s_waitcnt vmcnt(0) lgkmcnt(0)
	v_xor_b32_e32 v25, 0x80000000, v3
	v_cndmask_b32_e64 v3, v3, v25, s[12:13]
	v_cndmask_b32_e64 v2, v2, v2, s[12:13]
	v_xor_b32_e32 v25, 0x80000000, v7
	v_cndmask_b32_e64 v7, v7, v25, s[14:15]
	v_cndmask_b32_e64 v6, v6, v6, s[14:15]
	v_mfma_f64_16x16x4f64 v[46:53], v[0:1], v[4:5], 0
	s_add_i32 s44, s44, 4
	s_cmp_ge_i32 s44, s33
	v_add_u32_e32 v24, s40, v24
	v_add_u32_e32 v26, s41, v26
	;; [unrolled: 1-line block ×4, first 2 shown]
	v_mfma_f64_16x16x4f64 v[54:61], v[2:3], v[6:7], 0
	s_nop 7
	s_nop 2
	v_add_f64 v[60:61], v[52:53], -v[60:61]
	v_add_f64 v[58:59], v[50:51], -v[58:59]
	;; [unrolled: 1-line block ×4, first 2 shown]
	v_add_f64 v[20:21], v[20:21], v[54:55]
	v_add_f64 v[18:19], v[18:19], v[56:57]
	;; [unrolled: 1-line block ×4, first 2 shown]
	v_mfma_f64_16x16x4f64 v[46:53], v[0:1], v[6:7], 0
	v_mfma_f64_16x16x4f64 v[0:7], v[2:3], v[4:5], 0
	s_nop 7
	s_nop 2
	v_add_f64 v[6:7], v[52:53], v[6:7]
	v_add_f64 v[4:5], v[50:51], v[4:5]
	;; [unrolled: 1-line block ×8, first 2 shown]
	s_cbranch_scc1 .LBB21_28
.LBB21_6:                               ; =>This Inner Loop Header: Depth=1
	s_and_b64 vcc, exec, s[30:31]
	s_cbranch_vccz .LBB21_18
; %bb.7:                                ;   in Loop: Header=BB21_6 Depth=1
	v_pk_mov_b32 v[0:1], 0, 0
	s_mov_b64 s[28:29], 0
	v_pk_mov_b32 v[2:3], v[0:1], v[0:1] op_sel:[0,1]
	s_and_saveexec_b64 s[36:37], s[2:3]
	s_cbranch_execz .LBB21_11
; %bb.8:                                ;   in Loop: Header=BB21_6 Depth=1
	v_add_u32_e32 v0, s44, v33
	v_pk_mov_b32 v[2:3], 0, 0
	v_cmp_gt_i32_e32 vcc, s33, v0
	v_pk_mov_b32 v[0:1], v[2:3], v[2:3] op_sel:[0,1]
	s_and_saveexec_b64 s[38:39], vcc
	s_cbranch_execz .LBB21_10
; %bb.9:                                ;   in Loop: Header=BB21_6 Depth=1
	v_ashrrev_i32_e32 v27, 31, v26
	v_lshlrev_b64 v[0:1], 4, v[26:27]
	v_add_co_u32_e32 v0, vcc, v40, v0
	v_addc_co_u32_e32 v1, vcc, v41, v1, vcc
	global_load_dwordx4 v[0:3], v[0:1], off
.LBB21_10:                              ;   in Loop: Header=BB21_6 Depth=1
	s_or_b64 exec, exec, s[38:39]
.LBB21_11:                              ;   in Loop: Header=BB21_6 Depth=1
	s_or_b64 exec, exec, s[36:37]
	s_waitcnt vmcnt(0)
	ds_bpermute_b32 v0, v45, v0
	ds_bpermute_b32 v1, v45, v1
	;; [unrolled: 1-line block ×4, first 2 shown]
	s_and_b64 vcc, exec, s[28:29]
	s_cbranch_vccnz .LBB21_19
.LBB21_12:                              ;   in Loop: Header=BB21_6 Depth=1
	s_and_b64 vcc, exec, s[34:35]
	s_cbranch_vccz .LBB21_24
.LBB21_13:                              ;   in Loop: Header=BB21_6 Depth=1
	v_pk_mov_b32 v[6:7], 0, 0
	s_mov_b64 s[28:29], 0
	v_pk_mov_b32 v[4:5], v[6:7], v[6:7] op_sel:[0,1]
	s_and_saveexec_b64 s[36:37], s[10:11]
	s_cbranch_execz .LBB21_17
; %bb.14:                               ;   in Loop: Header=BB21_6 Depth=1
	v_add_u32_e32 v4, s44, v44
	v_pk_mov_b32 v[6:7], 0, 0
	v_cmp_gt_i32_e32 vcc, s33, v4
	v_pk_mov_b32 v[4:5], v[6:7], v[6:7] op_sel:[0,1]
	s_and_saveexec_b64 s[38:39], vcc
	s_cbranch_execz .LBB21_16
; %bb.15:                               ;   in Loop: Header=BB21_6 Depth=1
	v_ashrrev_i32_e32 v31, 31, v30
	v_lshlrev_b64 v[4:5], 4, v[30:31]
	v_add_co_u32_e32 v4, vcc, v42, v4
	v_addc_co_u32_e32 v5, vcc, v43, v5, vcc
	global_load_dwordx4 v[4:7], v[4:5], off
.LBB21_16:                              ;   in Loop: Header=BB21_6 Depth=1
	s_or_b64 exec, exec, s[38:39]
.LBB21_17:                              ;   in Loop: Header=BB21_6 Depth=1
	s_or_b64 exec, exec, s[36:37]
	s_andn2_b64 vcc, exec, s[28:29]
	s_cbranch_vccnz .LBB21_5
	s_branch .LBB21_25
.LBB21_18:                              ;   in Loop: Header=BB21_6 Depth=1
                                        ; implicit-def: $vgpr2_vgpr3
	s_cbranch_execz .LBB21_12
.LBB21_19:                              ;   in Loop: Header=BB21_6 Depth=1
	s_waitcnt lgkmcnt(0)
	v_pk_mov_b32 v[2:3], 0, 0
	v_pk_mov_b32 v[0:1], v[2:3], v[2:3] op_sel:[0,1]
	s_and_saveexec_b64 s[28:29], s[6:7]
	s_cbranch_execz .LBB21_23
; %bb.20:                               ;   in Loop: Header=BB21_6 Depth=1
	v_add_u32_e32 v0, s44, v44
	v_pk_mov_b32 v[2:3], 0, 0
	v_cmp_gt_i32_e32 vcc, s33, v0
	v_pk_mov_b32 v[0:1], v[2:3], v[2:3] op_sel:[0,1]
	s_and_saveexec_b64 s[36:37], vcc
	s_cbranch_execz .LBB21_22
; %bb.21:                               ;   in Loop: Header=BB21_6 Depth=1
	v_ashrrev_i32_e32 v25, 31, v24
	v_lshlrev_b64 v[0:1], 4, v[24:25]
	v_add_co_u32_e32 v0, vcc, v40, v0
	v_addc_co_u32_e32 v1, vcc, v41, v1, vcc
	global_load_dwordx4 v[0:3], v[0:1], off
.LBB21_22:                              ;   in Loop: Header=BB21_6 Depth=1
	s_or_b64 exec, exec, s[36:37]
.LBB21_23:                              ;   in Loop: Header=BB21_6 Depth=1
	s_or_b64 exec, exec, s[28:29]
	s_and_b64 vcc, exec, s[34:35]
	s_cbranch_vccnz .LBB21_13
.LBB21_24:                              ;   in Loop: Header=BB21_6 Depth=1
                                        ; implicit-def: $vgpr6_vgpr7
.LBB21_25:                              ;   in Loop: Header=BB21_6 Depth=1
	s_waitcnt vmcnt(0)
	v_pk_mov_b32 v[4:5], 0, 0
	v_pk_mov_b32 v[6:7], v[4:5], v[4:5] op_sel:[0,1]
	s_and_saveexec_b64 s[28:29], s[0:1]
	s_cbranch_execz .LBB21_4
; %bb.26:                               ;   in Loop: Header=BB21_6 Depth=1
	v_add_u32_e32 v4, s44, v33
	v_pk_mov_b32 v[6:7], 0, 0
	v_cmp_gt_i32_e32 vcc, s33, v4
	v_pk_mov_b32 v[4:5], v[6:7], v[6:7] op_sel:[0,1]
	s_and_saveexec_b64 s[36:37], vcc
	s_cbranch_execz .LBB21_3
; %bb.27:                               ;   in Loop: Header=BB21_6 Depth=1
	v_ashrrev_i32_e32 v29, 31, v28
	v_lshlrev_b64 v[4:5], 4, v[28:29]
	v_add_co_u32_e32 v4, vcc, v42, v4
	v_addc_co_u32_e32 v5, vcc, v43, v5, vcc
	global_load_dwordx4 v[4:7], v[4:5], off
	s_branch .LBB21_3
.LBB21_28:
	s_load_dwordx4 s[4:7], s[4:5], 0x78
	s_waitcnt lgkmcnt(0)
	s_mul_i32 s1, s8, s7
	s_mul_hi_u32 s2, s8, s6
	s_mul_i32 s3, s9, s6
	s_add_i32 s1, s2, s1
	s_mul_i32 s0, s8, s6
	s_add_i32 s1, s1, s3
	s_lshl_b64 s[0:1], s[0:1], 4
	s_add_u32 s2, s16, s0
	s_addc_u32 s3, s17, s1
	s_lshl_b64 s[0:1], s[18:19], 4
	s_add_u32 s2, s2, s0
	v_mul_lo_u32 v0, v35, s4
	s_addc_u32 s3, s3, s1
	v_mad_u64_u32 v[0:1], s[0:1], v36, s5, v[0:1]
	v_ashrrev_i32_e32 v1, 31, v0
	v_lshlrev_b64 v[2:3], 4, v[0:1]
	v_mov_b32_e32 v0, s3
	v_add_co_u32_e32 v1, vcc, s2, v2
	v_addc_co_u32_e32 v6, vcc, v0, v3, vcc
	v_lshlrev_b32_e32 v0, 4, v34
	v_mbcnt_hi_u32_b32 v2, -1, v39
	v_and_b32_e32 v0, 48, v0
	v_and_b32_e32 v2, 64, v2
	v_or3_b32 v0, v0, v2, v38
	v_lshlrev_b32_e32 v7, 2, v0
	ds_bpermute_b32 v2, v7, v20
	ds_bpermute_b32 v3, v7, v21
	;; [unrolled: 1-line block ×4, first 2 shown]
	v_cmp_lt_i32_e32 vcc, v38, v37
	v_cmp_lt_i32_e64 s[0:1], v33, v32
	v_mul_lo_u32 v0, v38, s5
	s_and_b64 s[0:1], vcc, s[0:1]
	s_and_saveexec_b64 s[2:3], s[0:1]
	s_cbranch_execz .LBB21_30
; %bb.29:
	v_mad_u64_u32 v[20:21], s[0:1], v33, s4, v[0:1]
	v_ashrrev_i32_e32 v21, 31, v20
	v_lshlrev_b64 v[20:21], 4, v[20:21]
	v_add_co_u32_e64 v24, s[0:1], v1, v20
	v_addc_co_u32_e64 v25, s[0:1], v6, v21, s[0:1]
	global_load_dwordx4 v[20:23], v[24:25], off
	s_waitcnt lgkmcnt(0)
	v_mul_f64 v[26:27], s[26:27], v[4:5]
	v_mul_f64 v[4:5], s[24:25], v[4:5]
	v_fma_f64 v[26:27], s[24:25], v[2:3], -v[26:27]
	v_fmac_f64_e32 v[4:5], s[26:27], v[2:3]
	s_waitcnt vmcnt(0)
	v_mul_f64 v[2:3], s[22:23], v[22:23]
	v_mul_f64 v[22:23], s[20:21], v[22:23]
	v_fma_f64 v[2:3], s[20:21], v[20:21], -v[2:3]
	v_fmac_f64_e32 v[22:23], s[22:23], v[20:21]
	v_add_f64 v[2:3], v[26:27], v[2:3]
	v_add_f64 v[4:5], v[4:5], v[22:23]
	global_store_dwordx4 v[24:25], v[2:5], off
.LBB21_30:
	s_or_b64 exec, exec, s[2:3]
	s_waitcnt lgkmcnt(3)
	ds_bpermute_b32 v2, v7, v18
	s_waitcnt lgkmcnt(3)
	ds_bpermute_b32 v3, v7, v19
	s_waitcnt lgkmcnt(3)
	ds_bpermute_b32 v4, v7, v16
	s_waitcnt lgkmcnt(3)
	ds_bpermute_b32 v5, v7, v17
	v_or_b32_e32 v16, 4, v33
	v_cmp_lt_i32_e64 s[0:1], v16, v32
	s_and_b64 s[0:1], vcc, s[0:1]
	s_and_saveexec_b64 s[2:3], s[0:1]
	s_cbranch_execz .LBB21_32
; %bb.31:
	v_mad_u64_u32 v[16:17], s[0:1], v16, s4, v[0:1]
	v_ashrrev_i32_e32 v17, 31, v16
	v_lshlrev_b64 v[16:17], 4, v[16:17]
	v_add_co_u32_e64 v20, s[0:1], v1, v16
	v_addc_co_u32_e64 v21, s[0:1], v6, v17, s[0:1]
	global_load_dwordx4 v[16:19], v[20:21], off
	s_waitcnt lgkmcnt(0)
	v_mul_f64 v[22:23], s[26:27], v[4:5]
	v_mul_f64 v[4:5], s[24:25], v[4:5]
	v_fma_f64 v[22:23], s[24:25], v[2:3], -v[22:23]
	v_fmac_f64_e32 v[4:5], s[26:27], v[2:3]
	s_waitcnt vmcnt(0)
	v_mul_f64 v[2:3], s[22:23], v[18:19]
	v_mul_f64 v[18:19], s[20:21], v[18:19]
	v_fma_f64 v[2:3], s[20:21], v[16:17], -v[2:3]
	v_fmac_f64_e32 v[18:19], s[22:23], v[16:17]
	v_add_f64 v[2:3], v[22:23], v[2:3]
	v_add_f64 v[4:5], v[4:5], v[18:19]
	global_store_dwordx4 v[20:21], v[2:5], off
.LBB21_32:
	s_or_b64 exec, exec, s[2:3]
	s_waitcnt lgkmcnt(3)
	ds_bpermute_b32 v2, v7, v14
	s_waitcnt lgkmcnt(3)
	ds_bpermute_b32 v3, v7, v15
	s_waitcnt lgkmcnt(3)
	ds_bpermute_b32 v4, v7, v12
	s_waitcnt lgkmcnt(3)
	ds_bpermute_b32 v5, v7, v13
	v_or_b32_e32 v12, 8, v33
	v_cmp_lt_i32_e64 s[0:1], v12, v32
	;; [unrolled: 35-line block ×3, first 2 shown]
	s_and_b64 s[0:1], vcc, s[0:1]
	s_and_b64 exec, exec, s[0:1]
	s_cbranch_execz .LBB21_36
; %bb.35:
	v_mad_u64_u32 v[8:9], s[0:1], v7, s4, v[0:1]
	v_ashrrev_i32_e32 v9, 31, v8
	v_lshlrev_b64 v[8:9], 4, v[8:9]
	v_add_co_u32_e32 v10, vcc, v1, v8
	v_addc_co_u32_e32 v11, vcc, v6, v9, vcc
	global_load_dwordx4 v[6:9], v[10:11], off
	s_waitcnt lgkmcnt(0)
	v_mul_f64 v[0:1], s[26:27], v[4:5]
	v_mul_f64 v[4:5], s[24:25], v[4:5]
	v_fma_f64 v[0:1], s[24:25], v[2:3], -v[0:1]
	v_fmac_f64_e32 v[4:5], s[26:27], v[2:3]
	s_waitcnt vmcnt(0)
	v_mul_f64 v[2:3], s[22:23], v[8:9]
	v_mul_f64 v[8:9], s[20:21], v[8:9]
	v_fma_f64 v[2:3], s[20:21], v[6:7], -v[2:3]
	v_fmac_f64_e32 v[8:9], s[22:23], v[6:7]
	v_add_f64 v[0:1], v[0:1], v[2:3]
	v_add_f64 v[2:3], v[4:5], v[8:9]
	global_store_dwordx4 v[10:11], v[0:3], off
.LBB21_36:
	s_endpgm
	.section	.rodata,"a",@progbits
	.p2align	6, 0x0
	.amdhsa_kernel _ZN9rocsolver6v33100L16mfma_gemm_kernelI19rocblas_complex_numIdEiPKS3_PKPS3_S6_S6_EEv18rocblas_operation_S9_T0_SA_SA_T1_T2_lSA_SA_lT3_lSA_SA_lSB_T4_lSA_SA_l
		.amdhsa_group_segment_fixed_size 0
		.amdhsa_private_segment_fixed_size 0
		.amdhsa_kernarg_size 392
		.amdhsa_user_sgpr_count 6
		.amdhsa_user_sgpr_private_segment_buffer 1
		.amdhsa_user_sgpr_dispatch_ptr 0
		.amdhsa_user_sgpr_queue_ptr 0
		.amdhsa_user_sgpr_kernarg_segment_ptr 1
		.amdhsa_user_sgpr_dispatch_id 0
		.amdhsa_user_sgpr_flat_scratch_init 0
		.amdhsa_user_sgpr_kernarg_preload_length 0
		.amdhsa_user_sgpr_kernarg_preload_offset 0
		.amdhsa_user_sgpr_private_segment_size 0
		.amdhsa_uses_dynamic_stack 0
		.amdhsa_system_sgpr_private_segment_wavefront_offset 0
		.amdhsa_system_sgpr_workgroup_id_x 1
		.amdhsa_system_sgpr_workgroup_id_y 1
		.amdhsa_system_sgpr_workgroup_id_z 1
		.amdhsa_system_sgpr_workgroup_info 0
		.amdhsa_system_vgpr_workitem_id 1
		.amdhsa_next_free_vgpr 62
		.amdhsa_next_free_sgpr 46
		.amdhsa_accum_offset 64
		.amdhsa_reserve_vcc 1
		.amdhsa_reserve_flat_scratch 0
		.amdhsa_float_round_mode_32 0
		.amdhsa_float_round_mode_16_64 0
		.amdhsa_float_denorm_mode_32 3
		.amdhsa_float_denorm_mode_16_64 3
		.amdhsa_dx10_clamp 1
		.amdhsa_ieee_mode 1
		.amdhsa_fp16_overflow 0
		.amdhsa_tg_split 0
		.amdhsa_exception_fp_ieee_invalid_op 0
		.amdhsa_exception_fp_denorm_src 0
		.amdhsa_exception_fp_ieee_div_zero 0
		.amdhsa_exception_fp_ieee_overflow 0
		.amdhsa_exception_fp_ieee_underflow 0
		.amdhsa_exception_fp_ieee_inexact 0
		.amdhsa_exception_int_div_zero 0
	.end_amdhsa_kernel
	.section	.text._ZN9rocsolver6v33100L16mfma_gemm_kernelI19rocblas_complex_numIdEiPKS3_PKPS3_S6_S6_EEv18rocblas_operation_S9_T0_SA_SA_T1_T2_lSA_SA_lT3_lSA_SA_lSB_T4_lSA_SA_l,"axG",@progbits,_ZN9rocsolver6v33100L16mfma_gemm_kernelI19rocblas_complex_numIdEiPKS3_PKPS3_S6_S6_EEv18rocblas_operation_S9_T0_SA_SA_T1_T2_lSA_SA_lT3_lSA_SA_lSB_T4_lSA_SA_l,comdat
.Lfunc_end21:
	.size	_ZN9rocsolver6v33100L16mfma_gemm_kernelI19rocblas_complex_numIdEiPKS3_PKPS3_S6_S6_EEv18rocblas_operation_S9_T0_SA_SA_T1_T2_lSA_SA_lT3_lSA_SA_lSB_T4_lSA_SA_l, .Lfunc_end21-_ZN9rocsolver6v33100L16mfma_gemm_kernelI19rocblas_complex_numIdEiPKS3_PKPS3_S6_S6_EEv18rocblas_operation_S9_T0_SA_SA_T1_T2_lSA_SA_lT3_lSA_SA_lSB_T4_lSA_SA_l
                                        ; -- End function
	.section	.AMDGPU.csdata,"",@progbits
; Kernel info:
; codeLenInByte = 2468
; NumSgprs: 50
; NumVgprs: 62
; NumAgprs: 0
; TotalNumVgprs: 62
; ScratchSize: 0
; MemoryBound: 1
; FloatMode: 240
; IeeeMode: 1
; LDSByteSize: 0 bytes/workgroup (compile time only)
; SGPRBlocks: 6
; VGPRBlocks: 7
; NumSGPRsForWavesPerEU: 50
; NumVGPRsForWavesPerEU: 62
; AccumOffset: 64
; Occupancy: 8
; WaveLimiterHint : 1
; COMPUTE_PGM_RSRC2:SCRATCH_EN: 0
; COMPUTE_PGM_RSRC2:USER_SGPR: 6
; COMPUTE_PGM_RSRC2:TRAP_HANDLER: 0
; COMPUTE_PGM_RSRC2:TGID_X_EN: 1
; COMPUTE_PGM_RSRC2:TGID_Y_EN: 1
; COMPUTE_PGM_RSRC2:TGID_Z_EN: 1
; COMPUTE_PGM_RSRC2:TIDIG_COMP_CNT: 1
; COMPUTE_PGM_RSRC3_GFX90A:ACCUM_OFFSET: 15
; COMPUTE_PGM_RSRC3_GFX90A:TG_SPLIT: 0
	.section	.text._ZN9rocsolver6v33100L16mfma_gemm_kernelI19rocblas_complex_numIdEiS3_PKPS3_S4_S4_EEv18rocblas_operation_S7_T0_S8_S8_T1_T2_lS8_S8_lT3_lS8_S8_lS9_T4_lS8_S8_l,"axG",@progbits,_ZN9rocsolver6v33100L16mfma_gemm_kernelI19rocblas_complex_numIdEiS3_PKPS3_S4_S4_EEv18rocblas_operation_S7_T0_S8_S8_T1_T2_lS8_S8_lT3_lS8_S8_lS9_T4_lS8_S8_l,comdat
	.globl	_ZN9rocsolver6v33100L16mfma_gemm_kernelI19rocblas_complex_numIdEiS3_PKPS3_S4_S4_EEv18rocblas_operation_S7_T0_S8_S8_T1_T2_lS8_S8_lT3_lS8_S8_lS9_T4_lS8_S8_l ; -- Begin function _ZN9rocsolver6v33100L16mfma_gemm_kernelI19rocblas_complex_numIdEiS3_PKPS3_S4_S4_EEv18rocblas_operation_S7_T0_S8_S8_T1_T2_lS8_S8_lT3_lS8_S8_lS9_T4_lS8_S8_l
	.p2align	8
	.type	_ZN9rocsolver6v33100L16mfma_gemm_kernelI19rocblas_complex_numIdEiS3_PKPS3_S4_S4_EEv18rocblas_operation_S7_T0_S8_S8_T1_T2_lS8_S8_lT3_lS8_S8_lS9_T4_lS8_S8_l,@function
_ZN9rocsolver6v33100L16mfma_gemm_kernelI19rocblas_complex_numIdEiS3_PKPS3_S4_S4_EEv18rocblas_operation_S7_T0_S8_S8_T1_T2_lS8_S8_lT3_lS8_S8_lS9_T4_lS8_S8_l: ; @_ZN9rocsolver6v33100L16mfma_gemm_kernelI19rocblas_complex_numIdEiS3_PKPS3_S4_S4_EEv18rocblas_operation_S7_T0_S8_S8_T1_T2_lS8_S8_lT3_lS8_S8_lS9_T4_lS8_S8_l
; %bb.0:
	s_load_dword s0, s[4:5], 0xa4
	s_load_dwordx4 s[36:39], s[4:5], 0x0
	v_and_b32_e32 v34, 0x3ff, v0
	v_bfe_u32 v0, v0, 10, 10
	v_lshrrev_b32_e32 v1, 6, v34
	s_waitcnt lgkmcnt(0)
	s_lshr_b32 s1, s0, 16
	s_bfe_u32 s0, s0, 0xa0006
	s_mul_i32 s7, s7, s1
	s_mul_i32 s6, s6, s0
	v_add_u32_e32 v0, s7, v0
	v_add_lshl_u32 v36, s6, v1, 4
	v_lshlrev_b32_e32 v37, 4, v0
	v_cmp_gt_i32_e32 vcc, s38, v36
	v_cmp_gt_i32_e64 s[0:1], s39, v37
	s_and_b64 s[0:1], vcc, s[0:1]
	s_and_saveexec_b64 s[2:3], s[0:1]
	s_cbranch_execz .LBB22_36
; %bb.1:
	s_ashr_i32 s0, s38, 31
	s_lshr_b32 s0, s0, 28
	s_add_i32 s0, s38, s0
	s_and_b32 s0, s0, -16
	s_sub_i32 s0, s38, s0
	v_mov_b32_e32 v1, s0
	s_ashr_i32 s0, s39, 31
	s_lshr_b32 s0, s0, 28
	s_add_i32 s0, s39, s0
	v_add_u32_e32 v0, 16, v36
	s_and_b32 s0, s0, -16
	v_cmp_lt_i32_e32 vcc, s38, v0
	v_add_u32_e32 v0, 16, v37
	s_sub_i32 s0, s39, s0
	s_load_dword s33, s[4:5], 0x10
	s_load_dwordx8 s[24:31], s[4:5], 0x18
	s_load_dwordx2 s[34:35], s[4:5], 0x80
	s_load_dwordx8 s[16:23], s[4:5], 0x60
	v_cndmask_b32_e32 v32, 16, v1, vcc
	v_mov_b32_e32 v1, s0
	v_cmp_lt_i32_e32 vcc, s39, v0
	v_cndmask_b32_e32 v35, 16, v1, vcc
	s_ashr_i32 s9, s8, 31
	v_bfe_u32 v38, v34, 2, 4
	v_pk_mov_b32 v[20:21], 0, 0
	v_and_b32_e32 v33, 3, v34
	s_waitcnt lgkmcnt(0)
	s_cmp_lt_i32 s33, 1
	v_cmp_lt_i32_e64 s[0:1], v38, v35
	v_mbcnt_lo_u32_b32 v39, -1, 0
	v_pk_mov_b32 v[22:23], v[20:21], v[20:21] op_sel:[0,1]
	v_pk_mov_b32 v[8:9], v[20:21], v[20:21] op_sel:[0,1]
	;; [unrolled: 1-line block ×7, first 2 shown]
	s_cbranch_scc1 .LBB22_28
; %bb.2:
	s_lshl_b64 s[2:3], s[8:9], 3
	s_add_u32 s2, s28, s2
	s_addc_u32 s3, s29, s3
	s_load_dwordx2 s[6:7], s[2:3], 0x0
	s_load_dwordx2 s[38:39], s[4:5], 0x38
	s_load_dwordx4 s[12:15], s[4:5], 0x48
	s_load_dwordx2 s[42:43], s[4:5], 0x58
	s_lshl_b64 s[2:3], s[30:31], 4
	s_waitcnt lgkmcnt(0)
	s_add_u32 s6, s6, s2
	s_addc_u32 s7, s7, s3
	s_mul_i32 s2, s8, s17
	s_mul_hi_u32 s3, s8, s16
	s_add_i32 s2, s3, s2
	s_mul_i32 s3, s9, s16
	s_add_i32 s3, s2, s3
	s_mul_i32 s2, s8, s16
	s_lshl_b64 s[2:3], s[2:3], 4
	s_add_u32 s10, s12, s2
	s_addc_u32 s11, s13, s3
	s_lshl_b64 s[2:3], s[14:15], 4
	s_add_u32 s2, s10, s2
	s_addc_u32 s3, s11, s3
	s_cmpk_lg_i32 s36, 0x6f
	s_cselect_b64 s[16:17], -1, 0
	s_cmpk_eq_i32 s36, 0x6f
	s_cselect_b32 s10, s38, s39
	v_mul_lo_u32 v0, v36, s10
	v_ashrrev_i32_e32 v1, 31, v0
	s_cmpk_lg_i32 s37, 0x6f
	v_lshlrev_b64 v[0:1], 4, v[0:1]
	s_cselect_b64 s[28:29], -1, 0
	s_cmpk_eq_i32 s37, 0x6f
	v_add_co_u32_e32 v40, vcc, s6, v0
	s_cselect_b32 s6, s43, s42
	v_mov_b32_e32 v3, s7
	v_mul_lo_u32 v0, v37, s6
	v_addc_co_u32_e32 v41, vcc, v3, v1, vcc
	v_ashrrev_i32_e32 v1, 31, v0
	v_lshlrev_b64 v[0:1], 4, v[0:1]
	v_mov_b32_e32 v3, s3
	v_add_co_u32_e32 v42, vcc, s2, v0
	v_and_b32_e32 v2, 63, v34
	v_addc_co_u32_e32 v43, vcc, v3, v1, vcc
	v_and_b32_e32 v1, 15, v34
	v_lshrrev_b32_e32 v44, 4, v2
	v_mul_lo_u32 v0, v1, s38
	v_mad_u64_u32 v[24:25], s[30:31], s39, v44, v[0:1]
	v_mul_lo_u32 v0, s38, v33
	v_mad_u64_u32 v[26:27], s[30:31], v38, s39, v[0:1]
	v_mul_lo_u32 v0, s42, v33
	v_lshl_or_b32 v3, v1, 2, v44
	s_cmpk_eq_i32 s36, 0x71
	v_mad_u64_u32 v[28:29], s[30:31], v38, s43, v[0:1]
	v_mbcnt_hi_u32_b32 v0, -1, v39
	v_mul_lo_u32 v2, v1, s42
	s_cselect_b64 s[12:13], -1, 0
	s_cmpk_eq_i32 s37, 0x71
	v_pk_mov_b32 v[8:9], 0, 0
	v_and_or_b32 v0, v0, 64, v3
	v_cmp_lt_i32_e64 s[2:3], v38, v32
	v_cmp_lt_i32_e64 s[6:7], v1, v32
	;; [unrolled: 1-line block ×3, first 2 shown]
	s_cselect_b64 s[14:15], -1, 0
	s_lshl_b32 s40, s39, 2
	s_lshl_b32 s41, s38, 2
	s_lshl_b32 s42, s42, 2
	v_mad_u64_u32 v[30:31], s[30:31], s43, v44, v[2:3]
	s_lshl_b32 s43, s43, 2
	s_mov_b32 s44, 0
	v_lshlrev_b32_e32 v45, 2, v0
	v_pk_mov_b32 v[12:13], v[8:9], v[8:9] op_sel:[0,1]
	v_pk_mov_b32 v[16:17], v[8:9], v[8:9] op_sel:[0,1]
	;; [unrolled: 1-line block ×7, first 2 shown]
	s_branch .LBB22_6
.LBB22_3:                               ;   in Loop: Header=BB22_6 Depth=1
	s_or_b64 exec, exec, s[36:37]
.LBB22_4:                               ;   in Loop: Header=BB22_6 Depth=1
	s_or_b64 exec, exec, s[30:31]
	s_waitcnt vmcnt(0)
	ds_bpermute_b32 v4, v45, v4
	ds_bpermute_b32 v5, v45, v5
	;; [unrolled: 1-line block ×4, first 2 shown]
.LBB22_5:                               ;   in Loop: Header=BB22_6 Depth=1
	s_waitcnt vmcnt(0) lgkmcnt(0)
	v_xor_b32_e32 v25, 0x80000000, v3
	v_cndmask_b32_e64 v3, v3, v25, s[12:13]
	v_cndmask_b32_e64 v2, v2, v2, s[12:13]
	v_xor_b32_e32 v25, 0x80000000, v7
	v_cndmask_b32_e64 v7, v7, v25, s[14:15]
	v_cndmask_b32_e64 v6, v6, v6, s[14:15]
	v_mfma_f64_16x16x4f64 v[46:53], v[0:1], v[4:5], 0
	s_add_i32 s44, s44, 4
	s_cmp_ge_i32 s44, s33
	v_add_u32_e32 v24, s40, v24
	v_add_u32_e32 v26, s41, v26
	;; [unrolled: 1-line block ×4, first 2 shown]
	v_mfma_f64_16x16x4f64 v[54:61], v[2:3], v[6:7], 0
	s_nop 7
	s_nop 2
	v_add_f64 v[60:61], v[52:53], -v[60:61]
	v_add_f64 v[58:59], v[50:51], -v[58:59]
	v_add_f64 v[56:57], v[48:49], -v[56:57]
	v_add_f64 v[54:55], v[46:47], -v[54:55]
	v_add_f64 v[20:21], v[20:21], v[54:55]
	v_add_f64 v[18:19], v[18:19], v[56:57]
	;; [unrolled: 1-line block ×4, first 2 shown]
	v_mfma_f64_16x16x4f64 v[46:53], v[0:1], v[6:7], 0
	v_mfma_f64_16x16x4f64 v[0:7], v[2:3], v[4:5], 0
	s_nop 7
	s_nop 2
	v_add_f64 v[6:7], v[52:53], v[6:7]
	v_add_f64 v[4:5], v[50:51], v[4:5]
	;; [unrolled: 1-line block ×8, first 2 shown]
	s_cbranch_scc1 .LBB22_28
.LBB22_6:                               ; =>This Inner Loop Header: Depth=1
	s_and_b64 vcc, exec, s[16:17]
	s_cbranch_vccz .LBB22_18
; %bb.7:                                ;   in Loop: Header=BB22_6 Depth=1
	v_pk_mov_b32 v[0:1], 0, 0
	s_mov_b64 s[30:31], 0
	v_pk_mov_b32 v[2:3], v[0:1], v[0:1] op_sel:[0,1]
	s_and_saveexec_b64 s[36:37], s[2:3]
	s_cbranch_execz .LBB22_11
; %bb.8:                                ;   in Loop: Header=BB22_6 Depth=1
	v_add_u32_e32 v0, s44, v33
	v_pk_mov_b32 v[2:3], 0, 0
	v_cmp_gt_i32_e32 vcc, s33, v0
	v_pk_mov_b32 v[0:1], v[2:3], v[2:3] op_sel:[0,1]
	s_and_saveexec_b64 s[38:39], vcc
	s_cbranch_execz .LBB22_10
; %bb.9:                                ;   in Loop: Header=BB22_6 Depth=1
	v_ashrrev_i32_e32 v27, 31, v26
	v_lshlrev_b64 v[0:1], 4, v[26:27]
	v_add_co_u32_e32 v0, vcc, v40, v0
	v_addc_co_u32_e32 v1, vcc, v41, v1, vcc
	global_load_dwordx4 v[0:3], v[0:1], off
.LBB22_10:                              ;   in Loop: Header=BB22_6 Depth=1
	s_or_b64 exec, exec, s[38:39]
.LBB22_11:                              ;   in Loop: Header=BB22_6 Depth=1
	s_or_b64 exec, exec, s[36:37]
	s_waitcnt vmcnt(0)
	ds_bpermute_b32 v0, v45, v0
	ds_bpermute_b32 v1, v45, v1
	;; [unrolled: 1-line block ×4, first 2 shown]
	s_and_b64 vcc, exec, s[30:31]
	s_cbranch_vccnz .LBB22_19
.LBB22_12:                              ;   in Loop: Header=BB22_6 Depth=1
	s_and_b64 vcc, exec, s[28:29]
	s_cbranch_vccz .LBB22_24
.LBB22_13:                              ;   in Loop: Header=BB22_6 Depth=1
	v_pk_mov_b32 v[6:7], 0, 0
	s_mov_b64 s[30:31], 0
	v_pk_mov_b32 v[4:5], v[6:7], v[6:7] op_sel:[0,1]
	s_and_saveexec_b64 s[36:37], s[10:11]
	s_cbranch_execz .LBB22_17
; %bb.14:                               ;   in Loop: Header=BB22_6 Depth=1
	v_add_u32_e32 v4, s44, v44
	v_pk_mov_b32 v[6:7], 0, 0
	v_cmp_gt_i32_e32 vcc, s33, v4
	v_pk_mov_b32 v[4:5], v[6:7], v[6:7] op_sel:[0,1]
	s_and_saveexec_b64 s[38:39], vcc
	s_cbranch_execz .LBB22_16
; %bb.15:                               ;   in Loop: Header=BB22_6 Depth=1
	v_ashrrev_i32_e32 v31, 31, v30
	v_lshlrev_b64 v[4:5], 4, v[30:31]
	v_add_co_u32_e32 v4, vcc, v42, v4
	v_addc_co_u32_e32 v5, vcc, v43, v5, vcc
	global_load_dwordx4 v[4:7], v[4:5], off
.LBB22_16:                              ;   in Loop: Header=BB22_6 Depth=1
	s_or_b64 exec, exec, s[38:39]
.LBB22_17:                              ;   in Loop: Header=BB22_6 Depth=1
	s_or_b64 exec, exec, s[36:37]
	s_andn2_b64 vcc, exec, s[30:31]
	s_cbranch_vccnz .LBB22_5
	s_branch .LBB22_25
.LBB22_18:                              ;   in Loop: Header=BB22_6 Depth=1
                                        ; implicit-def: $vgpr2_vgpr3
	s_cbranch_execz .LBB22_12
.LBB22_19:                              ;   in Loop: Header=BB22_6 Depth=1
	s_waitcnt lgkmcnt(0)
	v_pk_mov_b32 v[2:3], 0, 0
	v_pk_mov_b32 v[0:1], v[2:3], v[2:3] op_sel:[0,1]
	s_and_saveexec_b64 s[30:31], s[6:7]
	s_cbranch_execz .LBB22_23
; %bb.20:                               ;   in Loop: Header=BB22_6 Depth=1
	v_add_u32_e32 v0, s44, v44
	v_pk_mov_b32 v[2:3], 0, 0
	v_cmp_gt_i32_e32 vcc, s33, v0
	v_pk_mov_b32 v[0:1], v[2:3], v[2:3] op_sel:[0,1]
	s_and_saveexec_b64 s[36:37], vcc
	s_cbranch_execz .LBB22_22
; %bb.21:                               ;   in Loop: Header=BB22_6 Depth=1
	v_ashrrev_i32_e32 v25, 31, v24
	v_lshlrev_b64 v[0:1], 4, v[24:25]
	v_add_co_u32_e32 v0, vcc, v40, v0
	v_addc_co_u32_e32 v1, vcc, v41, v1, vcc
	global_load_dwordx4 v[0:3], v[0:1], off
.LBB22_22:                              ;   in Loop: Header=BB22_6 Depth=1
	s_or_b64 exec, exec, s[36:37]
.LBB22_23:                              ;   in Loop: Header=BB22_6 Depth=1
	s_or_b64 exec, exec, s[30:31]
	s_and_b64 vcc, exec, s[28:29]
	s_cbranch_vccnz .LBB22_13
.LBB22_24:                              ;   in Loop: Header=BB22_6 Depth=1
                                        ; implicit-def: $vgpr6_vgpr7
.LBB22_25:                              ;   in Loop: Header=BB22_6 Depth=1
	s_waitcnt vmcnt(0)
	v_pk_mov_b32 v[4:5], 0, 0
	v_pk_mov_b32 v[6:7], v[4:5], v[4:5] op_sel:[0,1]
	s_and_saveexec_b64 s[30:31], s[0:1]
	s_cbranch_execz .LBB22_4
; %bb.26:                               ;   in Loop: Header=BB22_6 Depth=1
	v_add_u32_e32 v4, s44, v33
	v_pk_mov_b32 v[6:7], 0, 0
	v_cmp_gt_i32_e32 vcc, s33, v4
	v_pk_mov_b32 v[4:5], v[6:7], v[6:7] op_sel:[0,1]
	s_and_saveexec_b64 s[36:37], vcc
	s_cbranch_execz .LBB22_3
; %bb.27:                               ;   in Loop: Header=BB22_6 Depth=1
	v_ashrrev_i32_e32 v29, 31, v28
	v_lshlrev_b64 v[4:5], 4, v[28:29]
	v_add_co_u32_e32 v4, vcc, v42, v4
	v_addc_co_u32_e32 v5, vcc, v43, v5, vcc
	global_load_dwordx4 v[4:7], v[4:5], off
	s_branch .LBB22_3
.LBB22_28:
	s_load_dwordx4 s[4:7], s[4:5], 0x88
	s_waitcnt lgkmcnt(0)
	s_mul_i32 s1, s8, s7
	s_mul_hi_u32 s2, s8, s6
	s_mul_i32 s3, s9, s6
	s_add_i32 s1, s2, s1
	s_mul_i32 s0, s8, s6
	s_add_i32 s1, s1, s3
	s_lshl_b64 s[0:1], s[0:1], 4
	s_add_u32 s2, s22, s0
	s_addc_u32 s3, s23, s1
	s_lshl_b64 s[0:1], s[34:35], 4
	s_add_u32 s2, s2, s0
	v_mul_lo_u32 v0, v36, s4
	s_addc_u32 s3, s3, s1
	v_mad_u64_u32 v[0:1], s[0:1], v37, s5, v[0:1]
	v_ashrrev_i32_e32 v1, 31, v0
	v_lshlrev_b64 v[2:3], 4, v[0:1]
	v_mov_b32_e32 v0, s3
	v_add_co_u32_e32 v1, vcc, s2, v2
	v_addc_co_u32_e32 v6, vcc, v0, v3, vcc
	v_lshlrev_b32_e32 v0, 4, v34
	v_mbcnt_hi_u32_b32 v2, -1, v39
	v_and_b32_e32 v0, 48, v0
	v_and_b32_e32 v2, 64, v2
	v_or3_b32 v0, v0, v2, v38
	v_lshlrev_b32_e32 v7, 2, v0
	ds_bpermute_b32 v2, v7, v20
	ds_bpermute_b32 v3, v7, v21
	;; [unrolled: 1-line block ×4, first 2 shown]
	v_cmp_lt_i32_e32 vcc, v38, v35
	v_cmp_lt_i32_e64 s[0:1], v33, v32
	v_mul_lo_u32 v0, v38, s5
	s_and_b64 s[0:1], vcc, s[0:1]
	s_and_saveexec_b64 s[2:3], s[0:1]
	s_cbranch_execz .LBB22_30
; %bb.29:
	v_mad_u64_u32 v[20:21], s[0:1], v33, s4, v[0:1]
	v_ashrrev_i32_e32 v21, 31, v20
	v_lshlrev_b64 v[20:21], 4, v[20:21]
	v_add_co_u32_e64 v24, s[0:1], v1, v20
	v_addc_co_u32_e64 v25, s[0:1], v6, v21, s[0:1]
	global_load_dwordx4 v[20:23], v[24:25], off
	s_waitcnt lgkmcnt(0)
	v_mul_f64 v[26:27], s[26:27], v[4:5]
	v_mul_f64 v[4:5], s[24:25], v[4:5]
	v_fma_f64 v[26:27], s[24:25], v[2:3], -v[26:27]
	v_fmac_f64_e32 v[4:5], s[26:27], v[2:3]
	s_waitcnt vmcnt(0)
	v_mul_f64 v[2:3], s[20:21], v[22:23]
	v_mul_f64 v[22:23], s[18:19], v[22:23]
	v_fma_f64 v[2:3], s[18:19], v[20:21], -v[2:3]
	v_fmac_f64_e32 v[22:23], s[20:21], v[20:21]
	v_add_f64 v[2:3], v[26:27], v[2:3]
	v_add_f64 v[4:5], v[4:5], v[22:23]
	global_store_dwordx4 v[24:25], v[2:5], off
.LBB22_30:
	s_or_b64 exec, exec, s[2:3]
	s_waitcnt lgkmcnt(3)
	ds_bpermute_b32 v2, v7, v18
	s_waitcnt lgkmcnt(3)
	ds_bpermute_b32 v3, v7, v19
	s_waitcnt lgkmcnt(3)
	ds_bpermute_b32 v4, v7, v16
	s_waitcnt lgkmcnt(3)
	ds_bpermute_b32 v5, v7, v17
	v_or_b32_e32 v16, 4, v33
	v_cmp_lt_i32_e64 s[0:1], v16, v32
	s_and_b64 s[0:1], vcc, s[0:1]
	s_and_saveexec_b64 s[2:3], s[0:1]
	s_cbranch_execz .LBB22_32
; %bb.31:
	v_mad_u64_u32 v[16:17], s[0:1], v16, s4, v[0:1]
	v_ashrrev_i32_e32 v17, 31, v16
	v_lshlrev_b64 v[16:17], 4, v[16:17]
	v_add_co_u32_e64 v20, s[0:1], v1, v16
	v_addc_co_u32_e64 v21, s[0:1], v6, v17, s[0:1]
	global_load_dwordx4 v[16:19], v[20:21], off
	s_waitcnt lgkmcnt(0)
	v_mul_f64 v[22:23], s[26:27], v[4:5]
	v_mul_f64 v[4:5], s[24:25], v[4:5]
	v_fma_f64 v[22:23], s[24:25], v[2:3], -v[22:23]
	v_fmac_f64_e32 v[4:5], s[26:27], v[2:3]
	s_waitcnt vmcnt(0)
	v_mul_f64 v[2:3], s[20:21], v[18:19]
	v_mul_f64 v[18:19], s[18:19], v[18:19]
	v_fma_f64 v[2:3], s[18:19], v[16:17], -v[2:3]
	v_fmac_f64_e32 v[18:19], s[20:21], v[16:17]
	v_add_f64 v[2:3], v[22:23], v[2:3]
	v_add_f64 v[4:5], v[4:5], v[18:19]
	global_store_dwordx4 v[20:21], v[2:5], off
.LBB22_32:
	s_or_b64 exec, exec, s[2:3]
	s_waitcnt lgkmcnt(3)
	ds_bpermute_b32 v2, v7, v14
	s_waitcnt lgkmcnt(3)
	ds_bpermute_b32 v3, v7, v15
	s_waitcnt lgkmcnt(3)
	ds_bpermute_b32 v4, v7, v12
	s_waitcnt lgkmcnt(3)
	ds_bpermute_b32 v5, v7, v13
	v_or_b32_e32 v12, 8, v33
	v_cmp_lt_i32_e64 s[0:1], v12, v32
	;; [unrolled: 35-line block ×3, first 2 shown]
	s_and_b64 s[0:1], vcc, s[0:1]
	s_and_b64 exec, exec, s[0:1]
	s_cbranch_execz .LBB22_36
; %bb.35:
	v_mad_u64_u32 v[8:9], s[0:1], v7, s4, v[0:1]
	v_ashrrev_i32_e32 v9, 31, v8
	v_lshlrev_b64 v[8:9], 4, v[8:9]
	v_add_co_u32_e32 v10, vcc, v1, v8
	v_addc_co_u32_e32 v11, vcc, v6, v9, vcc
	global_load_dwordx4 v[6:9], v[10:11], off
	s_waitcnt lgkmcnt(0)
	v_mul_f64 v[0:1], s[26:27], v[4:5]
	v_mul_f64 v[4:5], s[24:25], v[4:5]
	v_fma_f64 v[0:1], s[24:25], v[2:3], -v[0:1]
	v_fmac_f64_e32 v[4:5], s[26:27], v[2:3]
	s_waitcnt vmcnt(0)
	v_mul_f64 v[2:3], s[20:21], v[8:9]
	v_mul_f64 v[8:9], s[18:19], v[8:9]
	v_fma_f64 v[2:3], s[18:19], v[6:7], -v[2:3]
	v_fmac_f64_e32 v[8:9], s[20:21], v[6:7]
	v_add_f64 v[0:1], v[0:1], v[2:3]
	v_add_f64 v[2:3], v[4:5], v[8:9]
	global_store_dwordx4 v[10:11], v[0:3], off
.LBB22_36:
	s_endpgm
	.section	.rodata,"a",@progbits
	.p2align	6, 0x0
	.amdhsa_kernel _ZN9rocsolver6v33100L16mfma_gemm_kernelI19rocblas_complex_numIdEiS3_PKPS3_S4_S4_EEv18rocblas_operation_S7_T0_S8_S8_T1_T2_lS8_S8_lT3_lS8_S8_lS9_T4_lS8_S8_l
		.amdhsa_group_segment_fixed_size 0
		.amdhsa_private_segment_fixed_size 0
		.amdhsa_kernarg_size 408
		.amdhsa_user_sgpr_count 6
		.amdhsa_user_sgpr_private_segment_buffer 1
		.amdhsa_user_sgpr_dispatch_ptr 0
		.amdhsa_user_sgpr_queue_ptr 0
		.amdhsa_user_sgpr_kernarg_segment_ptr 1
		.amdhsa_user_sgpr_dispatch_id 0
		.amdhsa_user_sgpr_flat_scratch_init 0
		.amdhsa_user_sgpr_kernarg_preload_length 0
		.amdhsa_user_sgpr_kernarg_preload_offset 0
		.amdhsa_user_sgpr_private_segment_size 0
		.amdhsa_uses_dynamic_stack 0
		.amdhsa_system_sgpr_private_segment_wavefront_offset 0
		.amdhsa_system_sgpr_workgroup_id_x 1
		.amdhsa_system_sgpr_workgroup_id_y 1
		.amdhsa_system_sgpr_workgroup_id_z 1
		.amdhsa_system_sgpr_workgroup_info 0
		.amdhsa_system_vgpr_workitem_id 1
		.amdhsa_next_free_vgpr 62
		.amdhsa_next_free_sgpr 45
		.amdhsa_accum_offset 64
		.amdhsa_reserve_vcc 1
		.amdhsa_reserve_flat_scratch 0
		.amdhsa_float_round_mode_32 0
		.amdhsa_float_round_mode_16_64 0
		.amdhsa_float_denorm_mode_32 3
		.amdhsa_float_denorm_mode_16_64 3
		.amdhsa_dx10_clamp 1
		.amdhsa_ieee_mode 1
		.amdhsa_fp16_overflow 0
		.amdhsa_tg_split 0
		.amdhsa_exception_fp_ieee_invalid_op 0
		.amdhsa_exception_fp_denorm_src 0
		.amdhsa_exception_fp_ieee_div_zero 0
		.amdhsa_exception_fp_ieee_overflow 0
		.amdhsa_exception_fp_ieee_underflow 0
		.amdhsa_exception_fp_ieee_inexact 0
		.amdhsa_exception_int_div_zero 0
	.end_amdhsa_kernel
	.section	.text._ZN9rocsolver6v33100L16mfma_gemm_kernelI19rocblas_complex_numIdEiS3_PKPS3_S4_S4_EEv18rocblas_operation_S7_T0_S8_S8_T1_T2_lS8_S8_lT3_lS8_S8_lS9_T4_lS8_S8_l,"axG",@progbits,_ZN9rocsolver6v33100L16mfma_gemm_kernelI19rocblas_complex_numIdEiS3_PKPS3_S4_S4_EEv18rocblas_operation_S7_T0_S8_S8_T1_T2_lS8_S8_lT3_lS8_S8_lS9_T4_lS8_S8_l,comdat
.Lfunc_end22:
	.size	_ZN9rocsolver6v33100L16mfma_gemm_kernelI19rocblas_complex_numIdEiS3_PKPS3_S4_S4_EEv18rocblas_operation_S7_T0_S8_S8_T1_T2_lS8_S8_lT3_lS8_S8_lS9_T4_lS8_S8_l, .Lfunc_end22-_ZN9rocsolver6v33100L16mfma_gemm_kernelI19rocblas_complex_numIdEiS3_PKPS3_S4_S4_EEv18rocblas_operation_S7_T0_S8_S8_T1_T2_lS8_S8_lT3_lS8_S8_lS9_T4_lS8_S8_l
                                        ; -- End function
	.section	.AMDGPU.csdata,"",@progbits
; Kernel info:
; codeLenInByte = 2460
; NumSgprs: 49
; NumVgprs: 62
; NumAgprs: 0
; TotalNumVgprs: 62
; ScratchSize: 0
; MemoryBound: 1
; FloatMode: 240
; IeeeMode: 1
; LDSByteSize: 0 bytes/workgroup (compile time only)
; SGPRBlocks: 6
; VGPRBlocks: 7
; NumSGPRsForWavesPerEU: 49
; NumVGPRsForWavesPerEU: 62
; AccumOffset: 64
; Occupancy: 8
; WaveLimiterHint : 1
; COMPUTE_PGM_RSRC2:SCRATCH_EN: 0
; COMPUTE_PGM_RSRC2:USER_SGPR: 6
; COMPUTE_PGM_RSRC2:TRAP_HANDLER: 0
; COMPUTE_PGM_RSRC2:TGID_X_EN: 1
; COMPUTE_PGM_RSRC2:TGID_Y_EN: 1
; COMPUTE_PGM_RSRC2:TGID_Z_EN: 1
; COMPUTE_PGM_RSRC2:TIDIG_COMP_CNT: 1
; COMPUTE_PGM_RSRC3_GFX90A:ACCUM_OFFSET: 15
; COMPUTE_PGM_RSRC3_GFX90A:TG_SPLIT: 0
	.section	.text._ZN9rocsolver6v33100L11gemm_kernelI19rocblas_complex_numIdEiPKS3_PKPS3_S6_S6_EEvT0_S9_S9_T1_bT2_lS9_S9_lbT3_lS9_S9_lSA_T4_lS9_S9_l,"axG",@progbits,_ZN9rocsolver6v33100L11gemm_kernelI19rocblas_complex_numIdEiPKS3_PKPS3_S6_S6_EEvT0_S9_S9_T1_bT2_lS9_S9_lbT3_lS9_S9_lSA_T4_lS9_S9_l,comdat
	.globl	_ZN9rocsolver6v33100L11gemm_kernelI19rocblas_complex_numIdEiPKS3_PKPS3_S6_S6_EEvT0_S9_S9_T1_bT2_lS9_S9_lbT3_lS9_S9_lSA_T4_lS9_S9_l ; -- Begin function _ZN9rocsolver6v33100L11gemm_kernelI19rocblas_complex_numIdEiPKS3_PKPS3_S6_S6_EEvT0_S9_S9_T1_bT2_lS9_S9_lbT3_lS9_S9_lSA_T4_lS9_S9_l
	.p2align	8
	.type	_ZN9rocsolver6v33100L11gemm_kernelI19rocblas_complex_numIdEiPKS3_PKPS3_S6_S6_EEvT0_S9_S9_T1_bT2_lS9_S9_lbT3_lS9_S9_lSA_T4_lS9_S9_l,@function
_ZN9rocsolver6v33100L11gemm_kernelI19rocblas_complex_numIdEiPKS3_PKPS3_S6_S6_EEvT0_S9_S9_T1_bT2_lS9_S9_lbT3_lS9_S9_lSA_T4_lS9_S9_l: ; @_ZN9rocsolver6v33100L11gemm_kernelI19rocblas_complex_numIdEiPKS3_PKPS3_S6_S6_EEvT0_S9_S9_T1_bT2_lS9_S9_lbT3_lS9_S9_lSA_T4_lS9_S9_l
; %bb.0:
	s_load_dword s0, s[4:5], 0x9c
	s_load_dwordx4 s[20:23], s[4:5], 0x0
	v_and_b32_e32 v1, 0x3ff, v0
	v_bfe_u32 v0, v0, 10, 10
	s_waitcnt lgkmcnt(0)
	s_lshr_b32 s1, s0, 16
	s_and_b32 s0, s0, 0xffff
	s_mul_i32 s6, s6, s0
	s_mul_i32 s7, s7, s1
	v_add_u32_e32 v8, s6, v1
	v_add_u32_e32 v9, s7, v0
	v_cmp_gt_i32_e32 vcc, s20, v8
	v_cmp_gt_i32_e64 s[0:1], s21, v9
	s_and_b64 s[0:1], vcc, s[0:1]
	s_and_saveexec_b64 s[2:3], s[0:1]
	s_cbranch_execz .LBB23_5
; %bb.1:
	s_load_dwordx2 s[6:7], s[4:5], 0x10
	s_load_dwordx8 s[12:19], s[4:5], 0x60
	s_ashr_i32 s9, s8, 31
	v_pk_mov_b32 v[0:1], 0, 0
	s_cmp_lt_i32 s22, 1
	v_pk_mov_b32 v[2:3], v[0:1], v[0:1] op_sel:[0,1]
	s_cbranch_scc1 .LBB23_4
; %bb.2:
	s_load_dwordx4 s[0:3], s[4:5], 0x20
	s_load_dword s23, s[4:5], 0x18
	s_load_dwordx2 s[10:11], s[4:5], 0x30
	s_load_dword s30, s[4:5], 0x40
	s_lshl_b64 s[20:21], s[8:9], 3
	s_waitcnt lgkmcnt(0)
	s_add_u32 s0, s0, s20
	s_addc_u32 s1, s1, s21
	s_load_dwordx2 s[20:21], s[0:1], 0x0
	s_bitcmp1_b32 s23, 0
	s_cselect_b64 vcc, -1, 0
	s_bitcmp1_b32 s30, 0
	s_cselect_b64 s[0:1], -1, 0
	v_mul_lo_u32 v0, v8, s10
	s_lshl_b64 s[2:3], s[2:3], 4
	v_ashrrev_i32_e32 v1, 31, v0
	s_waitcnt lgkmcnt(0)
	s_add_u32 s2, s20, s2
	v_lshlrev_b64 v[0:1], 4, v[0:1]
	s_addc_u32 s3, s21, s3
	v_mov_b32_e32 v3, s3
	v_add_co_u32_e64 v0, s[2:3], s2, v0
	v_addc_co_u32_e64 v1, s[2:3], v3, v1, s[2:3]
	v_add_co_u32_e64 v4, s[2:3], 8, v0
	v_addc_co_u32_e64 v5, s[2:3], 0, v1, s[2:3]
	s_load_dwordx4 s[24:27], s[4:5], 0x48
	s_load_dwordx2 s[28:29], s[4:5], 0x58
	s_ashr_i32 s3, s11, 31
	s_mov_b32 s2, s11
	s_lshl_b64 s[10:11], s[2:3], 4
	s_mul_i32 s2, s12, s9
	s_mul_hi_u32 s3, s12, s8
	s_add_i32 s2, s3, s2
	s_mul_i32 s3, s13, s8
	s_add_i32 s3, s2, s3
	s_mul_i32 s2, s12, s8
	s_lshl_b64 s[2:3], s[2:3], 4
	s_waitcnt lgkmcnt(0)
	s_lshl_b64 s[12:13], s[26:27], 4
	s_add_u32 s2, s2, s12
	v_mul_lo_u32 v2, v9, s29
	s_addc_u32 s3, s3, s13
	v_ashrrev_i32_e32 v3, 31, v2
	s_add_u32 s2, s24, s2
	v_lshlrev_b64 v[0:1], 4, v[2:3]
	s_addc_u32 s3, s25, s3
	v_mov_b32_e32 v2, s3
	v_add_co_u32_e64 v0, s[2:3], s2, v0
	v_addc_co_u32_e64 v1, s[2:3], v2, v1, s[2:3]
	v_add_co_u32_e64 v6, s[2:3], 8, v0
	s_ashr_i32 s29, s28, 31
	v_addc_co_u32_e64 v7, s[2:3], 0, v1, s[2:3]
	s_lshl_b64 s[12:13], s[28:29], 4
	v_pk_mov_b32 v[0:1], 0, 0
	v_mov_b32_e32 v10, s11
	v_mov_b32_e32 v11, s13
	v_pk_mov_b32 v[2:3], v[0:1], v[0:1] op_sel:[0,1]
.LBB23_3:                               ; =>This Inner Loop Header: Depth=1
	global_load_dwordx4 v[12:15], v[4:5], off offset:-8
	global_load_dwordx4 v[16:19], v[6:7], off offset:-8
	v_add_co_u32_e64 v4, s[2:3], s10, v4
	v_addc_co_u32_e64 v5, s[2:3], v5, v10, s[2:3]
	s_add_i32 s22, s22, -1
	v_add_co_u32_e64 v6, s[2:3], s12, v6
	v_addc_co_u32_e64 v7, s[2:3], v7, v11, s[2:3]
	s_cmp_eq_u32 s22, 0
	s_waitcnt vmcnt(1)
	v_xor_b32_e32 v20, 0x80000000, v15
	s_waitcnt vmcnt(0)
	v_xor_b32_e32 v21, 0x80000000, v19
	v_cndmask_b32_e32 v15, v15, v20, vcc
	v_cndmask_b32_e64 v19, v19, v21, s[0:1]
	v_mul_f64 v[20:21], v[14:15], v[18:19]
	v_mul_f64 v[14:15], v[14:15], v[16:17]
	v_fma_f64 v[16:17], v[12:13], v[16:17], -v[20:21]
	v_fmac_f64_e32 v[14:15], v[12:13], v[18:19]
	v_add_f64 v[2:3], v[2:3], v[16:17]
	v_add_f64 v[0:1], v[0:1], v[14:15]
	s_cbranch_scc0 .LBB23_3
.LBB23_4:
	s_waitcnt lgkmcnt(0)
	s_load_dwordx4 s[20:23], s[6:7], 0x0
	s_load_dwordx4 s[0:3], s[14:15], 0x0
                                        ; kill: killed $sgpr14_sgpr15
                                        ; kill: killed $sgpr6_sgpr7
	s_nop 0
	s_load_dwordx4 s[4:7], s[4:5], 0x80
	s_waitcnt lgkmcnt(0)
	v_mul_f64 v[10:11], s[22:23], v[0:1]
	v_mul_f64 v[12:13], s[20:21], v[0:1]
	v_fma_f64 v[0:1], s[20:21], v[2:3], -v[10:11]
	v_fmac_f64_e32 v[12:13], s[22:23], v[2:3]
	s_mul_i32 s7, s8, s7
	s_mul_hi_u32 s10, s8, s6
	s_mul_i32 s9, s9, s6
	s_add_i32 s7, s10, s7
	s_mul_i32 s6, s8, s6
	s_add_i32 s7, s7, s9
	s_lshl_b64 s[6:7], s[6:7], 4
	s_add_u32 s8, s16, s6
	v_mul_lo_u32 v4, v8, s4
	s_addc_u32 s9, s17, s7
	s_lshl_b64 s[6:7], s[18:19], 4
	v_mad_u64_u32 v[4:5], s[4:5], v9, s5, v[4:5]
	s_add_u32 s6, s8, s6
	v_ashrrev_i32_e32 v5, 31, v4
	s_addc_u32 s7, s9, s7
	v_lshlrev_b64 v[4:5], 4, v[4:5]
	v_mov_b32_e32 v6, s7
	v_add_co_u32_e32 v8, vcc, s6, v4
	v_addc_co_u32_e32 v9, vcc, v6, v5, vcc
	global_load_dwordx4 v[4:7], v[8:9], off
	s_waitcnt vmcnt(0)
	v_mul_f64 v[2:3], s[2:3], v[6:7]
	v_mul_f64 v[6:7], s[0:1], v[6:7]
	v_fma_f64 v[2:3], s[0:1], v[4:5], -v[2:3]
	v_fmac_f64_e32 v[6:7], s[2:3], v[4:5]
	v_add_f64 v[0:1], v[0:1], v[2:3]
	v_add_f64 v[2:3], v[12:13], v[6:7]
	global_store_dwordx4 v[8:9], v[0:3], off
.LBB23_5:
	s_endpgm
	.section	.rodata,"a",@progbits
	.p2align	6, 0x0
	.amdhsa_kernel _ZN9rocsolver6v33100L11gemm_kernelI19rocblas_complex_numIdEiPKS3_PKPS3_S6_S6_EEvT0_S9_S9_T1_bT2_lS9_S9_lbT3_lS9_S9_lSA_T4_lS9_S9_l
		.amdhsa_group_segment_fixed_size 0
		.amdhsa_private_segment_fixed_size 0
		.amdhsa_kernarg_size 400
		.amdhsa_user_sgpr_count 6
		.amdhsa_user_sgpr_private_segment_buffer 1
		.amdhsa_user_sgpr_dispatch_ptr 0
		.amdhsa_user_sgpr_queue_ptr 0
		.amdhsa_user_sgpr_kernarg_segment_ptr 1
		.amdhsa_user_sgpr_dispatch_id 0
		.amdhsa_user_sgpr_flat_scratch_init 0
		.amdhsa_user_sgpr_kernarg_preload_length 0
		.amdhsa_user_sgpr_kernarg_preload_offset 0
		.amdhsa_user_sgpr_private_segment_size 0
		.amdhsa_uses_dynamic_stack 0
		.amdhsa_system_sgpr_private_segment_wavefront_offset 0
		.amdhsa_system_sgpr_workgroup_id_x 1
		.amdhsa_system_sgpr_workgroup_id_y 1
		.amdhsa_system_sgpr_workgroup_id_z 1
		.amdhsa_system_sgpr_workgroup_info 0
		.amdhsa_system_vgpr_workitem_id 1
		.amdhsa_next_free_vgpr 22
		.amdhsa_next_free_sgpr 31
		.amdhsa_accum_offset 24
		.amdhsa_reserve_vcc 1
		.amdhsa_reserve_flat_scratch 0
		.amdhsa_float_round_mode_32 0
		.amdhsa_float_round_mode_16_64 0
		.amdhsa_float_denorm_mode_32 3
		.amdhsa_float_denorm_mode_16_64 3
		.amdhsa_dx10_clamp 1
		.amdhsa_ieee_mode 1
		.amdhsa_fp16_overflow 0
		.amdhsa_tg_split 0
		.amdhsa_exception_fp_ieee_invalid_op 0
		.amdhsa_exception_fp_denorm_src 0
		.amdhsa_exception_fp_ieee_div_zero 0
		.amdhsa_exception_fp_ieee_overflow 0
		.amdhsa_exception_fp_ieee_underflow 0
		.amdhsa_exception_fp_ieee_inexact 0
		.amdhsa_exception_int_div_zero 0
	.end_amdhsa_kernel
	.section	.text._ZN9rocsolver6v33100L11gemm_kernelI19rocblas_complex_numIdEiPKS3_PKPS3_S6_S6_EEvT0_S9_S9_T1_bT2_lS9_S9_lbT3_lS9_S9_lSA_T4_lS9_S9_l,"axG",@progbits,_ZN9rocsolver6v33100L11gemm_kernelI19rocblas_complex_numIdEiPKS3_PKPS3_S6_S6_EEvT0_S9_S9_T1_bT2_lS9_S9_lbT3_lS9_S9_lSA_T4_lS9_S9_l,comdat
.Lfunc_end23:
	.size	_ZN9rocsolver6v33100L11gemm_kernelI19rocblas_complex_numIdEiPKS3_PKPS3_S6_S6_EEvT0_S9_S9_T1_bT2_lS9_S9_lbT3_lS9_S9_lSA_T4_lS9_S9_l, .Lfunc_end23-_ZN9rocsolver6v33100L11gemm_kernelI19rocblas_complex_numIdEiPKS3_PKPS3_S6_S6_EEvT0_S9_S9_T1_bT2_lS9_S9_lbT3_lS9_S9_lSA_T4_lS9_S9_l
                                        ; -- End function
	.section	.AMDGPU.csdata,"",@progbits
; Kernel info:
; codeLenInByte = 804
; NumSgprs: 35
; NumVgprs: 22
; NumAgprs: 0
; TotalNumVgprs: 22
; ScratchSize: 0
; MemoryBound: 0
; FloatMode: 240
; IeeeMode: 1
; LDSByteSize: 0 bytes/workgroup (compile time only)
; SGPRBlocks: 4
; VGPRBlocks: 2
; NumSGPRsForWavesPerEU: 35
; NumVGPRsForWavesPerEU: 22
; AccumOffset: 24
; Occupancy: 8
; WaveLimiterHint : 1
; COMPUTE_PGM_RSRC2:SCRATCH_EN: 0
; COMPUTE_PGM_RSRC2:USER_SGPR: 6
; COMPUTE_PGM_RSRC2:TRAP_HANDLER: 0
; COMPUTE_PGM_RSRC2:TGID_X_EN: 1
; COMPUTE_PGM_RSRC2:TGID_Y_EN: 1
; COMPUTE_PGM_RSRC2:TGID_Z_EN: 1
; COMPUTE_PGM_RSRC2:TIDIG_COMP_CNT: 1
; COMPUTE_PGM_RSRC3_GFX90A:ACCUM_OFFSET: 5
; COMPUTE_PGM_RSRC3_GFX90A:TG_SPLIT: 0
	.section	.text._ZN9rocsolver6v33100L11gemm_kernelI19rocblas_complex_numIdEiS3_PKPS3_S4_S4_EEvT0_S7_S7_T1_bT2_lS7_S7_lbT3_lS7_S7_lS8_T4_lS7_S7_l,"axG",@progbits,_ZN9rocsolver6v33100L11gemm_kernelI19rocblas_complex_numIdEiS3_PKPS3_S4_S4_EEvT0_S7_S7_T1_bT2_lS7_S7_lbT3_lS7_S7_lS8_T4_lS7_S7_l,comdat
	.globl	_ZN9rocsolver6v33100L11gemm_kernelI19rocblas_complex_numIdEiS3_PKPS3_S4_S4_EEvT0_S7_S7_T1_bT2_lS7_S7_lbT3_lS7_S7_lS8_T4_lS7_S7_l ; -- Begin function _ZN9rocsolver6v33100L11gemm_kernelI19rocblas_complex_numIdEiS3_PKPS3_S4_S4_EEvT0_S7_S7_T1_bT2_lS7_S7_lbT3_lS7_S7_lS8_T4_lS7_S7_l
	.p2align	8
	.type	_ZN9rocsolver6v33100L11gemm_kernelI19rocblas_complex_numIdEiS3_PKPS3_S4_S4_EEvT0_S7_S7_T1_bT2_lS7_S7_lbT3_lS7_S7_lS8_T4_lS7_S7_l,@function
_ZN9rocsolver6v33100L11gemm_kernelI19rocblas_complex_numIdEiS3_PKPS3_S4_S4_EEvT0_S7_S7_T1_bT2_lS7_S7_lbT3_lS7_S7_lS8_T4_lS7_S7_l: ; @_ZN9rocsolver6v33100L11gemm_kernelI19rocblas_complex_numIdEiS3_PKPS3_S4_S4_EEvT0_S7_S7_T1_bT2_lS7_S7_lbT3_lS7_S7_lS8_T4_lS7_S7_l
; %bb.0:
	s_load_dword s0, s[4:5], 0xac
	s_load_dwordx4 s[20:23], s[4:5], 0x0
	v_and_b32_e32 v1, 0x3ff, v0
	v_bfe_u32 v0, v0, 10, 10
	s_waitcnt lgkmcnt(0)
	s_lshr_b32 s1, s0, 16
	s_and_b32 s0, s0, 0xffff
	s_mul_i32 s6, s6, s0
	s_mul_i32 s7, s7, s1
	v_add_u32_e32 v8, s6, v1
	v_add_u32_e32 v9, s7, v0
	v_cmp_gt_i32_e32 vcc, s20, v8
	v_cmp_gt_i32_e64 s[0:1], s21, v9
	s_and_b64 s[0:1], vcc, s[0:1]
	s_and_saveexec_b64 s[2:3], s[0:1]
	s_cbranch_execz .LBB24_5
; %bb.1:
	s_load_dwordx2 s[6:7], s[4:5], 0x88
	s_load_dwordx8 s[12:19], s[4:5], 0x68
	s_ashr_i32 s9, s8, 31
	v_pk_mov_b32 v[0:1], 0, 0
	s_cmp_lt_i32 s22, 1
	v_pk_mov_b32 v[2:3], v[0:1], v[0:1] op_sel:[0,1]
	s_cbranch_scc1 .LBB24_4
; %bb.2:
	s_load_dwordx4 s[0:3], s[4:5], 0x28
	s_load_dword s23, s[4:5], 0x20
	s_load_dwordx2 s[10:11], s[4:5], 0x38
	s_load_dword s30, s[4:5], 0x48
	s_lshl_b64 s[20:21], s[8:9], 3
	s_waitcnt lgkmcnt(0)
	s_add_u32 s0, s0, s20
	s_addc_u32 s1, s1, s21
	s_load_dwordx2 s[20:21], s[0:1], 0x0
	s_bitcmp1_b32 s23, 0
	s_cselect_b64 vcc, -1, 0
	s_bitcmp1_b32 s30, 0
	s_cselect_b64 s[0:1], -1, 0
	v_mul_lo_u32 v0, v8, s10
	s_lshl_b64 s[2:3], s[2:3], 4
	v_ashrrev_i32_e32 v1, 31, v0
	s_waitcnt lgkmcnt(0)
	s_add_u32 s2, s20, s2
	v_lshlrev_b64 v[0:1], 4, v[0:1]
	s_addc_u32 s3, s21, s3
	v_mov_b32_e32 v3, s3
	v_add_co_u32_e64 v0, s[2:3], s2, v0
	v_addc_co_u32_e64 v1, s[2:3], v3, v1, s[2:3]
	v_add_co_u32_e64 v4, s[2:3], 8, v0
	v_addc_co_u32_e64 v5, s[2:3], 0, v1, s[2:3]
	s_load_dwordx4 s[24:27], s[4:5], 0x50
	s_load_dwordx2 s[28:29], s[4:5], 0x60
	s_ashr_i32 s3, s11, 31
	s_mov_b32 s2, s11
	s_lshl_b64 s[10:11], s[2:3], 4
	s_mul_i32 s2, s12, s9
	s_mul_hi_u32 s3, s12, s8
	s_add_i32 s2, s3, s2
	s_mul_i32 s3, s13, s8
	s_add_i32 s3, s2, s3
	s_mul_i32 s2, s12, s8
	s_lshl_b64 s[2:3], s[2:3], 4
	s_waitcnt lgkmcnt(0)
	s_lshl_b64 s[12:13], s[26:27], 4
	s_add_u32 s2, s2, s12
	v_mul_lo_u32 v2, v9, s29
	s_addc_u32 s3, s3, s13
	v_ashrrev_i32_e32 v3, 31, v2
	s_add_u32 s2, s24, s2
	v_lshlrev_b64 v[0:1], 4, v[2:3]
	s_addc_u32 s3, s25, s3
	v_mov_b32_e32 v2, s3
	v_add_co_u32_e64 v0, s[2:3], s2, v0
	v_addc_co_u32_e64 v1, s[2:3], v2, v1, s[2:3]
	v_add_co_u32_e64 v6, s[2:3], 8, v0
	s_ashr_i32 s29, s28, 31
	v_addc_co_u32_e64 v7, s[2:3], 0, v1, s[2:3]
	s_lshl_b64 s[12:13], s[28:29], 4
	v_pk_mov_b32 v[0:1], 0, 0
	v_mov_b32_e32 v10, s11
	v_mov_b32_e32 v11, s13
	v_pk_mov_b32 v[2:3], v[0:1], v[0:1] op_sel:[0,1]
.LBB24_3:                               ; =>This Inner Loop Header: Depth=1
	global_load_dwordx4 v[12:15], v[4:5], off offset:-8
	global_load_dwordx4 v[16:19], v[6:7], off offset:-8
	v_add_co_u32_e64 v4, s[2:3], s10, v4
	v_addc_co_u32_e64 v5, s[2:3], v5, v10, s[2:3]
	s_add_i32 s22, s22, -1
	v_add_co_u32_e64 v6, s[2:3], s12, v6
	v_addc_co_u32_e64 v7, s[2:3], v7, v11, s[2:3]
	s_cmp_eq_u32 s22, 0
	s_waitcnt vmcnt(1)
	v_xor_b32_e32 v20, 0x80000000, v15
	s_waitcnt vmcnt(0)
	v_xor_b32_e32 v21, 0x80000000, v19
	v_cndmask_b32_e32 v15, v15, v20, vcc
	v_cndmask_b32_e64 v19, v19, v21, s[0:1]
	v_mul_f64 v[20:21], v[14:15], v[18:19]
	v_mul_f64 v[14:15], v[14:15], v[16:17]
	v_fma_f64 v[16:17], v[12:13], v[16:17], -v[20:21]
	v_fmac_f64_e32 v[14:15], v[12:13], v[18:19]
	v_add_f64 v[2:3], v[2:3], v[16:17]
	v_add_f64 v[0:1], v[0:1], v[14:15]
	s_cbranch_scc0 .LBB24_3
.LBB24_4:
	s_load_dwordx4 s[0:3], s[4:5], 0x10
	s_load_dwordx4 s[20:23], s[4:5], 0x90
	s_waitcnt lgkmcnt(0)
	v_mul_f64 v[10:11], s[2:3], v[0:1]
	s_mul_i32 s5, s8, s23
	s_mul_hi_u32 s10, s8, s22
	s_mul_i32 s9, s9, s22
	s_add_i32 s5, s10, s5
	s_mul_i32 s4, s8, s22
	s_add_i32 s5, s5, s9
	s_lshl_b64 s[4:5], s[4:5], 4
	s_add_u32 s8, s18, s4
	s_addc_u32 s9, s19, s5
	s_lshl_b64 s[4:5], s[6:7], 4
	s_add_u32 s6, s8, s4
	v_mul_lo_u32 v4, v8, s20
	s_addc_u32 s7, s9, s5
	v_mad_u64_u32 v[4:5], s[4:5], v9, s21, v[4:5]
	v_ashrrev_i32_e32 v5, 31, v4
	v_lshlrev_b64 v[4:5], 4, v[4:5]
	v_mov_b32_e32 v6, s7
	v_add_co_u32_e32 v8, vcc, s6, v4
	v_addc_co_u32_e32 v9, vcc, v6, v5, vcc
	global_load_dwordx4 v[4:7], v[8:9], off
	v_mul_f64 v[12:13], s[0:1], v[0:1]
	v_fma_f64 v[0:1], s[0:1], v[2:3], -v[10:11]
	v_fmac_f64_e32 v[12:13], s[2:3], v[2:3]
	s_waitcnt vmcnt(0)
	v_mul_f64 v[2:3], s[16:17], v[6:7]
	v_mul_f64 v[6:7], s[14:15], v[6:7]
	v_fma_f64 v[2:3], s[14:15], v[4:5], -v[2:3]
	v_fmac_f64_e32 v[6:7], s[16:17], v[4:5]
	v_add_f64 v[0:1], v[0:1], v[2:3]
	v_add_f64 v[2:3], v[12:13], v[6:7]
	global_store_dwordx4 v[8:9], v[0:3], off
.LBB24_5:
	s_endpgm
	.section	.rodata,"a",@progbits
	.p2align	6, 0x0
	.amdhsa_kernel _ZN9rocsolver6v33100L11gemm_kernelI19rocblas_complex_numIdEiS3_PKPS3_S4_S4_EEvT0_S7_S7_T1_bT2_lS7_S7_lbT3_lS7_S7_lS8_T4_lS7_S7_l
		.amdhsa_group_segment_fixed_size 0
		.amdhsa_private_segment_fixed_size 0
		.amdhsa_kernarg_size 416
		.amdhsa_user_sgpr_count 6
		.amdhsa_user_sgpr_private_segment_buffer 1
		.amdhsa_user_sgpr_dispatch_ptr 0
		.amdhsa_user_sgpr_queue_ptr 0
		.amdhsa_user_sgpr_kernarg_segment_ptr 1
		.amdhsa_user_sgpr_dispatch_id 0
		.amdhsa_user_sgpr_flat_scratch_init 0
		.amdhsa_user_sgpr_kernarg_preload_length 0
		.amdhsa_user_sgpr_kernarg_preload_offset 0
		.amdhsa_user_sgpr_private_segment_size 0
		.amdhsa_uses_dynamic_stack 0
		.amdhsa_system_sgpr_private_segment_wavefront_offset 0
		.amdhsa_system_sgpr_workgroup_id_x 1
		.amdhsa_system_sgpr_workgroup_id_y 1
		.amdhsa_system_sgpr_workgroup_id_z 1
		.amdhsa_system_sgpr_workgroup_info 0
		.amdhsa_system_vgpr_workitem_id 1
		.amdhsa_next_free_vgpr 22
		.amdhsa_next_free_sgpr 31
		.amdhsa_accum_offset 24
		.amdhsa_reserve_vcc 1
		.amdhsa_reserve_flat_scratch 0
		.amdhsa_float_round_mode_32 0
		.amdhsa_float_round_mode_16_64 0
		.amdhsa_float_denorm_mode_32 3
		.amdhsa_float_denorm_mode_16_64 3
		.amdhsa_dx10_clamp 1
		.amdhsa_ieee_mode 1
		.amdhsa_fp16_overflow 0
		.amdhsa_tg_split 0
		.amdhsa_exception_fp_ieee_invalid_op 0
		.amdhsa_exception_fp_denorm_src 0
		.amdhsa_exception_fp_ieee_div_zero 0
		.amdhsa_exception_fp_ieee_overflow 0
		.amdhsa_exception_fp_ieee_underflow 0
		.amdhsa_exception_fp_ieee_inexact 0
		.amdhsa_exception_int_div_zero 0
	.end_amdhsa_kernel
	.section	.text._ZN9rocsolver6v33100L11gemm_kernelI19rocblas_complex_numIdEiS3_PKPS3_S4_S4_EEvT0_S7_S7_T1_bT2_lS7_S7_lbT3_lS7_S7_lS8_T4_lS7_S7_l,"axG",@progbits,_ZN9rocsolver6v33100L11gemm_kernelI19rocblas_complex_numIdEiS3_PKPS3_S4_S4_EEvT0_S7_S7_T1_bT2_lS7_S7_lbT3_lS7_S7_lS8_T4_lS7_S7_l,comdat
.Lfunc_end24:
	.size	_ZN9rocsolver6v33100L11gemm_kernelI19rocblas_complex_numIdEiS3_PKPS3_S4_S4_EEvT0_S7_S7_T1_bT2_lS7_S7_lbT3_lS7_S7_lS8_T4_lS7_S7_l, .Lfunc_end24-_ZN9rocsolver6v33100L11gemm_kernelI19rocblas_complex_numIdEiS3_PKPS3_S4_S4_EEvT0_S7_S7_T1_bT2_lS7_S7_lbT3_lS7_S7_lS8_T4_lS7_S7_l
                                        ; -- End function
	.section	.AMDGPU.csdata,"",@progbits
; Kernel info:
; codeLenInByte = 788
; NumSgprs: 35
; NumVgprs: 22
; NumAgprs: 0
; TotalNumVgprs: 22
; ScratchSize: 0
; MemoryBound: 0
; FloatMode: 240
; IeeeMode: 1
; LDSByteSize: 0 bytes/workgroup (compile time only)
; SGPRBlocks: 4
; VGPRBlocks: 2
; NumSGPRsForWavesPerEU: 35
; NumVGPRsForWavesPerEU: 22
; AccumOffset: 24
; Occupancy: 8
; WaveLimiterHint : 1
; COMPUTE_PGM_RSRC2:SCRATCH_EN: 0
; COMPUTE_PGM_RSRC2:USER_SGPR: 6
; COMPUTE_PGM_RSRC2:TRAP_HANDLER: 0
; COMPUTE_PGM_RSRC2:TGID_X_EN: 1
; COMPUTE_PGM_RSRC2:TGID_Y_EN: 1
; COMPUTE_PGM_RSRC2:TGID_Z_EN: 1
; COMPUTE_PGM_RSRC2:TIDIG_COMP_CNT: 1
; COMPUTE_PGM_RSRC3_GFX90A:ACCUM_OFFSET: 5
; COMPUTE_PGM_RSRC3_GFX90A:TG_SPLIT: 0
	.section	.text._ZN9rocsolver6v33100L16mfma_gemm_kernelI19rocblas_complex_numIdEiPKS3_PS3_PKS6_S6_EEv18rocblas_operation_S9_T0_SA_SA_T1_T2_lSA_SA_lT3_lSA_SA_lSB_T4_lSA_SA_l,"axG",@progbits,_ZN9rocsolver6v33100L16mfma_gemm_kernelI19rocblas_complex_numIdEiPKS3_PS3_PKS6_S6_EEv18rocblas_operation_S9_T0_SA_SA_T1_T2_lSA_SA_lT3_lSA_SA_lSB_T4_lSA_SA_l,comdat
	.globl	_ZN9rocsolver6v33100L16mfma_gemm_kernelI19rocblas_complex_numIdEiPKS3_PS3_PKS6_S6_EEv18rocblas_operation_S9_T0_SA_SA_T1_T2_lSA_SA_lT3_lSA_SA_lSB_T4_lSA_SA_l ; -- Begin function _ZN9rocsolver6v33100L16mfma_gemm_kernelI19rocblas_complex_numIdEiPKS3_PS3_PKS6_S6_EEv18rocblas_operation_S9_T0_SA_SA_T1_T2_lSA_SA_lT3_lSA_SA_lSB_T4_lSA_SA_l
	.p2align	8
	.type	_ZN9rocsolver6v33100L16mfma_gemm_kernelI19rocblas_complex_numIdEiPKS3_PS3_PKS6_S6_EEv18rocblas_operation_S9_T0_SA_SA_T1_T2_lSA_SA_lT3_lSA_SA_lSB_T4_lSA_SA_l,@function
_ZN9rocsolver6v33100L16mfma_gemm_kernelI19rocblas_complex_numIdEiPKS3_PS3_PKS6_S6_EEv18rocblas_operation_S9_T0_SA_SA_T1_T2_lSA_SA_lT3_lSA_SA_lSB_T4_lSA_SA_l: ; @_ZN9rocsolver6v33100L16mfma_gemm_kernelI19rocblas_complex_numIdEiPKS3_PS3_PKS6_S6_EEv18rocblas_operation_S9_T0_SA_SA_T1_T2_lSA_SA_lT3_lSA_SA_lSB_T4_lSA_SA_l
; %bb.0:
	s_load_dword s0, s[4:5], 0x94
	s_load_dwordx4 s[40:43], s[4:5], 0x0
	v_and_b32_e32 v34, 0x3ff, v0
	v_bfe_u32 v0, v0, 10, 10
	v_lshrrev_b32_e32 v1, 6, v34
	s_waitcnt lgkmcnt(0)
	s_lshr_b32 s1, s0, 16
	s_bfe_u32 s0, s0, 0xa0006
	s_mul_i32 s7, s7, s1
	s_mul_i32 s6, s6, s0
	v_add_u32_e32 v0, s7, v0
	v_add_lshl_u32 v35, s6, v1, 4
	v_lshlrev_b32_e32 v36, 4, v0
	v_cmp_gt_i32_e32 vcc, s42, v35
	v_cmp_gt_i32_e64 s[0:1], s43, v36
	s_and_b64 s[0:1], vcc, s[0:1]
	s_and_saveexec_b64 s[2:3], s[0:1]
	s_cbranch_execz .LBB25_36
; %bb.1:
	s_ashr_i32 s6, s42, 31
	s_lshr_b32 s6, s6, 28
	s_add_i32 s6, s42, s6
	s_load_dword s33, s[4:5], 0x10
	s_load_dwordx4 s[0:3], s[4:5], 0x18
	s_load_dwordx2 s[34:35], s[4:5], 0x70
	s_load_dwordx4 s[36:39], s[4:5], 0x60
	s_and_b32 s6, s6, -16
	s_sub_i32 s6, s42, s6
	v_mov_b32_e32 v1, s6
	s_ashr_i32 s6, s43, 31
	s_lshr_b32 s6, s6, 28
	s_add_i32 s6, s43, s6
	v_add_u32_e32 v0, 16, v35
	s_and_b32 s6, s6, -16
	s_waitcnt lgkmcnt(0)
	s_load_dwordx4 s[28:31], s[0:1], 0x0
	s_load_dwordx4 s[24:27], s[36:37], 0x0
	v_cmp_lt_i32_e32 vcc, s42, v0
	v_add_u32_e32 v0, 16, v36
	s_sub_i32 s6, s43, s6
	v_cndmask_b32_e32 v32, 16, v1, vcc
	v_mov_b32_e32 v1, s6
	v_cmp_lt_i32_e32 vcc, s43, v0
	v_cndmask_b32_e32 v37, 16, v1, vcc
	s_ashr_i32 s9, s8, 31
	v_bfe_u32 v38, v34, 2, 4
	v_pk_mov_b32 v[20:21], 0, 0
	v_and_b32_e32 v33, 3, v34
	s_cmp_lt_i32 s33, 1
	v_cmp_lt_i32_e64 s[0:1], v38, v37
	v_mbcnt_lo_u32_b32 v39, -1, 0
	v_pk_mov_b32 v[22:23], v[20:21], v[20:21] op_sel:[0,1]
	v_pk_mov_b32 v[8:9], v[20:21], v[20:21] op_sel:[0,1]
	;; [unrolled: 1-line block ×7, first 2 shown]
	s_cbranch_scc1 .LBB25_28
; %bb.2:
	s_load_dwordx8 s[16:23], s[4:5], 0x28
	s_load_dwordx4 s[44:47], s[4:5], 0x48
	v_and_b32_e32 v2, 63, v34
	v_lshrrev_b32_e32 v44, 4, v2
	v_pk_mov_b32 v[8:9], 0, 0
	s_waitcnt lgkmcnt(0)
	s_mul_i32 s7, s8, s21
	s_mul_hi_u32 s10, s8, s20
	s_mul_i32 s11, s9, s20
	s_add_i32 s7, s10, s7
	s_mul_i32 s6, s8, s20
	s_add_i32 s7, s7, s11
	s_lshl_b64 s[6:7], s[6:7], 4
	s_add_u32 s6, s2, s6
	s_addc_u32 s7, s3, s7
	s_lshl_b64 s[2:3], s[16:17], 4
	s_add_u32 s10, s6, s2
	s_addc_u32 s11, s7, s3
	;; [unrolled: 3-line block ×3, first 2 shown]
	s_load_dwordx2 s[2:3], s[2:3], 0x0
	s_lshl_b64 s[6:7], s[44:45], 4
	v_mov_b32_e32 v3, s11
	s_mov_b32 s44, 0
	v_pk_mov_b32 v[12:13], v[8:9], v[8:9] op_sel:[0,1]
	s_waitcnt lgkmcnt(0)
	s_add_u32 s2, s2, s6
	s_addc_u32 s3, s3, s7
	s_cmpk_lg_i32 s40, 0x6f
	s_cselect_b64 s[16:17], -1, 0
	s_cmpk_eq_i32 s40, 0x6f
	s_cselect_b32 s6, s18, s19
	v_mul_lo_u32 v0, v35, s6
	s_cmpk_lg_i32 s41, 0x6f
	v_ashrrev_i32_e32 v1, 31, v0
	s_cselect_b64 s[20:21], -1, 0
	s_cmpk_eq_i32 s41, 0x6f
	v_lshlrev_b64 v[0:1], 4, v[0:1]
	s_cselect_b32 s6, s47, s46
	v_add_co_u32_e32 v40, vcc, s10, v0
	v_mul_lo_u32 v0, v36, s6
	v_addc_co_u32_e32 v41, vcc, v3, v1, vcc
	v_ashrrev_i32_e32 v1, 31, v0
	v_lshlrev_b64 v[0:1], 4, v[0:1]
	v_mov_b32_e32 v3, s3
	v_add_co_u32_e32 v42, vcc, s2, v0
	v_addc_co_u32_e32 v43, vcc, v3, v1, vcc
	v_and_b32_e32 v1, 15, v34
	v_mul_lo_u32 v0, v1, s18
	s_cmpk_eq_i32 s40, 0x71
	v_mad_u64_u32 v[24:25], s[22:23], s19, v44, v[0:1]
	v_mul_lo_u32 v0, s18, v33
	s_cselect_b64 s[12:13], -1, 0
	s_cmpk_eq_i32 s41, 0x71
	v_mad_u64_u32 v[26:27], s[22:23], v38, s19, v[0:1]
	v_mul_lo_u32 v0, s46, v33
	v_lshl_or_b32 v3, v1, 2, v44
	s_cselect_b64 s[14:15], -1, 0
	s_lshl_b32 s40, s19, 2
	s_lshl_b32 s41, s18, 2
	v_mad_u64_u32 v[28:29], s[18:19], v38, s47, v[0:1]
	v_mbcnt_hi_u32_b32 v0, -1, v39
	v_mul_lo_u32 v2, v1, s46
	v_and_or_b32 v0, v0, 64, v3
	v_cmp_lt_i32_e64 s[2:3], v38, v32
	v_cmp_lt_i32_e64 s[6:7], v1, v32
	;; [unrolled: 1-line block ×3, first 2 shown]
	s_lshl_b32 s42, s46, 2
	v_mad_u64_u32 v[30:31], s[18:19], s47, v44, v[2:3]
	s_lshl_b32 s43, s47, 2
	v_lshlrev_b32_e32 v45, 2, v0
	v_pk_mov_b32 v[16:17], v[8:9], v[8:9] op_sel:[0,1]
	v_pk_mov_b32 v[10:11], v[8:9], v[8:9] op_sel:[0,1]
	;; [unrolled: 1-line block ×6, first 2 shown]
	s_branch .LBB25_6
.LBB25_3:                               ;   in Loop: Header=BB25_6 Depth=1
	s_or_b64 exec, exec, s[22:23]
.LBB25_4:                               ;   in Loop: Header=BB25_6 Depth=1
	s_or_b64 exec, exec, s[18:19]
	s_waitcnt vmcnt(0)
	ds_bpermute_b32 v4, v45, v4
	ds_bpermute_b32 v5, v45, v5
	;; [unrolled: 1-line block ×4, first 2 shown]
.LBB25_5:                               ;   in Loop: Header=BB25_6 Depth=1
	s_waitcnt vmcnt(0) lgkmcnt(0)
	v_xor_b32_e32 v25, 0x80000000, v3
	v_cndmask_b32_e64 v3, v3, v25, s[12:13]
	v_cndmask_b32_e64 v2, v2, v2, s[12:13]
	v_xor_b32_e32 v25, 0x80000000, v7
	v_cndmask_b32_e64 v7, v7, v25, s[14:15]
	v_cndmask_b32_e64 v6, v6, v6, s[14:15]
	v_mfma_f64_16x16x4f64 v[46:53], v[0:1], v[4:5], 0
	s_add_i32 s44, s44, 4
	s_cmp_ge_i32 s44, s33
	v_add_u32_e32 v24, s40, v24
	v_add_u32_e32 v26, s41, v26
	;; [unrolled: 1-line block ×4, first 2 shown]
	v_mfma_f64_16x16x4f64 v[54:61], v[2:3], v[6:7], 0
	s_nop 7
	s_nop 2
	v_add_f64 v[60:61], v[52:53], -v[60:61]
	v_add_f64 v[58:59], v[50:51], -v[58:59]
	;; [unrolled: 1-line block ×4, first 2 shown]
	v_add_f64 v[20:21], v[20:21], v[54:55]
	v_add_f64 v[18:19], v[18:19], v[56:57]
	v_add_f64 v[14:15], v[14:15], v[58:59]
	v_add_f64 v[10:11], v[10:11], v[60:61]
	v_mfma_f64_16x16x4f64 v[46:53], v[0:1], v[6:7], 0
	v_mfma_f64_16x16x4f64 v[0:7], v[2:3], v[4:5], 0
	s_nop 7
	s_nop 2
	v_add_f64 v[6:7], v[52:53], v[6:7]
	v_add_f64 v[4:5], v[50:51], v[4:5]
	;; [unrolled: 1-line block ×8, first 2 shown]
	s_cbranch_scc1 .LBB25_28
.LBB25_6:                               ; =>This Inner Loop Header: Depth=1
	s_and_b64 vcc, exec, s[16:17]
	s_cbranch_vccz .LBB25_18
; %bb.7:                                ;   in Loop: Header=BB25_6 Depth=1
	v_pk_mov_b32 v[0:1], 0, 0
	s_mov_b64 s[18:19], 0
	v_pk_mov_b32 v[2:3], v[0:1], v[0:1] op_sel:[0,1]
	s_and_saveexec_b64 s[22:23], s[2:3]
	s_cbranch_execz .LBB25_11
; %bb.8:                                ;   in Loop: Header=BB25_6 Depth=1
	v_add_u32_e32 v0, s44, v33
	v_pk_mov_b32 v[2:3], 0, 0
	v_cmp_gt_i32_e32 vcc, s33, v0
	v_pk_mov_b32 v[0:1], v[2:3], v[2:3] op_sel:[0,1]
	s_and_saveexec_b64 s[36:37], vcc
	s_cbranch_execz .LBB25_10
; %bb.9:                                ;   in Loop: Header=BB25_6 Depth=1
	v_ashrrev_i32_e32 v27, 31, v26
	v_lshlrev_b64 v[0:1], 4, v[26:27]
	v_add_co_u32_e32 v0, vcc, v40, v0
	v_addc_co_u32_e32 v1, vcc, v41, v1, vcc
	global_load_dwordx4 v[0:3], v[0:1], off
.LBB25_10:                              ;   in Loop: Header=BB25_6 Depth=1
	s_or_b64 exec, exec, s[36:37]
.LBB25_11:                              ;   in Loop: Header=BB25_6 Depth=1
	s_or_b64 exec, exec, s[22:23]
	s_waitcnt vmcnt(0)
	ds_bpermute_b32 v0, v45, v0
	ds_bpermute_b32 v1, v45, v1
	;; [unrolled: 1-line block ×4, first 2 shown]
	s_and_b64 vcc, exec, s[18:19]
	s_cbranch_vccnz .LBB25_19
.LBB25_12:                              ;   in Loop: Header=BB25_6 Depth=1
	s_and_b64 vcc, exec, s[20:21]
	s_cbranch_vccz .LBB25_24
.LBB25_13:                              ;   in Loop: Header=BB25_6 Depth=1
	v_pk_mov_b32 v[6:7], 0, 0
	s_mov_b64 s[18:19], 0
	v_pk_mov_b32 v[4:5], v[6:7], v[6:7] op_sel:[0,1]
	s_and_saveexec_b64 s[22:23], s[10:11]
	s_cbranch_execz .LBB25_17
; %bb.14:                               ;   in Loop: Header=BB25_6 Depth=1
	v_add_u32_e32 v4, s44, v44
	v_pk_mov_b32 v[6:7], 0, 0
	v_cmp_gt_i32_e32 vcc, s33, v4
	v_pk_mov_b32 v[4:5], v[6:7], v[6:7] op_sel:[0,1]
	s_and_saveexec_b64 s[36:37], vcc
	s_cbranch_execz .LBB25_16
; %bb.15:                               ;   in Loop: Header=BB25_6 Depth=1
	v_ashrrev_i32_e32 v31, 31, v30
	v_lshlrev_b64 v[4:5], 4, v[30:31]
	v_add_co_u32_e32 v4, vcc, v42, v4
	v_addc_co_u32_e32 v5, vcc, v43, v5, vcc
	global_load_dwordx4 v[4:7], v[4:5], off
.LBB25_16:                              ;   in Loop: Header=BB25_6 Depth=1
	s_or_b64 exec, exec, s[36:37]
.LBB25_17:                              ;   in Loop: Header=BB25_6 Depth=1
	s_or_b64 exec, exec, s[22:23]
	s_andn2_b64 vcc, exec, s[18:19]
	s_cbranch_vccnz .LBB25_5
	s_branch .LBB25_25
.LBB25_18:                              ;   in Loop: Header=BB25_6 Depth=1
                                        ; implicit-def: $vgpr2_vgpr3
	s_cbranch_execz .LBB25_12
.LBB25_19:                              ;   in Loop: Header=BB25_6 Depth=1
	s_waitcnt lgkmcnt(0)
	v_pk_mov_b32 v[2:3], 0, 0
	v_pk_mov_b32 v[0:1], v[2:3], v[2:3] op_sel:[0,1]
	s_and_saveexec_b64 s[18:19], s[6:7]
	s_cbranch_execz .LBB25_23
; %bb.20:                               ;   in Loop: Header=BB25_6 Depth=1
	v_add_u32_e32 v0, s44, v44
	v_pk_mov_b32 v[2:3], 0, 0
	v_cmp_gt_i32_e32 vcc, s33, v0
	v_pk_mov_b32 v[0:1], v[2:3], v[2:3] op_sel:[0,1]
	s_and_saveexec_b64 s[22:23], vcc
	s_cbranch_execz .LBB25_22
; %bb.21:                               ;   in Loop: Header=BB25_6 Depth=1
	v_ashrrev_i32_e32 v25, 31, v24
	v_lshlrev_b64 v[0:1], 4, v[24:25]
	v_add_co_u32_e32 v0, vcc, v40, v0
	v_addc_co_u32_e32 v1, vcc, v41, v1, vcc
	global_load_dwordx4 v[0:3], v[0:1], off
.LBB25_22:                              ;   in Loop: Header=BB25_6 Depth=1
	s_or_b64 exec, exec, s[22:23]
.LBB25_23:                              ;   in Loop: Header=BB25_6 Depth=1
	s_or_b64 exec, exec, s[18:19]
	s_and_b64 vcc, exec, s[20:21]
	s_cbranch_vccnz .LBB25_13
.LBB25_24:                              ;   in Loop: Header=BB25_6 Depth=1
                                        ; implicit-def: $vgpr6_vgpr7
.LBB25_25:                              ;   in Loop: Header=BB25_6 Depth=1
	s_waitcnt vmcnt(0)
	v_pk_mov_b32 v[4:5], 0, 0
	v_pk_mov_b32 v[6:7], v[4:5], v[4:5] op_sel:[0,1]
	s_and_saveexec_b64 s[18:19], s[0:1]
	s_cbranch_execz .LBB25_4
; %bb.26:                               ;   in Loop: Header=BB25_6 Depth=1
	v_add_u32_e32 v4, s44, v33
	v_pk_mov_b32 v[6:7], 0, 0
	v_cmp_gt_i32_e32 vcc, s33, v4
	v_pk_mov_b32 v[4:5], v[6:7], v[6:7] op_sel:[0,1]
	s_and_saveexec_b64 s[22:23], vcc
	s_cbranch_execz .LBB25_3
; %bb.27:                               ;   in Loop: Header=BB25_6 Depth=1
	v_ashrrev_i32_e32 v29, 31, v28
	v_lshlrev_b64 v[4:5], 4, v[28:29]
	v_add_co_u32_e32 v4, vcc, v42, v4
	v_addc_co_u32_e32 v5, vcc, v43, v5, vcc
	global_load_dwordx4 v[4:7], v[4:5], off
	s_branch .LBB25_3
.LBB25_28:
	s_load_dwordx4 s[4:7], s[4:5], 0x78
	s_waitcnt lgkmcnt(0)
	s_mul_i32 s1, s8, s7
	s_mul_hi_u32 s2, s8, s6
	s_mul_i32 s3, s9, s6
	s_add_i32 s1, s2, s1
	s_mul_i32 s0, s8, s6
	s_add_i32 s1, s1, s3
	s_lshl_b64 s[0:1], s[0:1], 4
	s_add_u32 s2, s38, s0
	s_addc_u32 s3, s39, s1
	s_lshl_b64 s[0:1], s[34:35], 4
	s_add_u32 s2, s2, s0
	v_mul_lo_u32 v0, v35, s4
	s_addc_u32 s3, s3, s1
	v_mad_u64_u32 v[0:1], s[0:1], v36, s5, v[0:1]
	v_ashrrev_i32_e32 v1, 31, v0
	v_lshlrev_b64 v[2:3], 4, v[0:1]
	v_mov_b32_e32 v0, s3
	v_add_co_u32_e32 v1, vcc, s2, v2
	v_addc_co_u32_e32 v6, vcc, v0, v3, vcc
	v_lshlrev_b32_e32 v0, 4, v34
	v_mbcnt_hi_u32_b32 v2, -1, v39
	v_and_b32_e32 v0, 48, v0
	v_and_b32_e32 v2, 64, v2
	v_or3_b32 v0, v0, v2, v38
	v_lshlrev_b32_e32 v7, 2, v0
	ds_bpermute_b32 v2, v7, v20
	ds_bpermute_b32 v3, v7, v21
	;; [unrolled: 1-line block ×4, first 2 shown]
	v_cmp_lt_i32_e32 vcc, v38, v37
	v_cmp_lt_i32_e64 s[0:1], v33, v32
	v_mul_lo_u32 v0, v38, s5
	s_and_b64 s[0:1], vcc, s[0:1]
	s_and_saveexec_b64 s[2:3], s[0:1]
	s_cbranch_execz .LBB25_30
; %bb.29:
	v_mad_u64_u32 v[20:21], s[0:1], v33, s4, v[0:1]
	v_ashrrev_i32_e32 v21, 31, v20
	v_lshlrev_b64 v[20:21], 4, v[20:21]
	v_add_co_u32_e64 v24, s[0:1], v1, v20
	v_addc_co_u32_e64 v25, s[0:1], v6, v21, s[0:1]
	global_load_dwordx4 v[20:23], v[24:25], off
	s_waitcnt lgkmcnt(0)
	v_mul_f64 v[26:27], s[30:31], v[4:5]
	v_mul_f64 v[4:5], s[28:29], v[4:5]
	v_fma_f64 v[26:27], s[28:29], v[2:3], -v[26:27]
	v_fmac_f64_e32 v[4:5], s[30:31], v[2:3]
	s_waitcnt vmcnt(0)
	v_mul_f64 v[2:3], s[26:27], v[22:23]
	v_mul_f64 v[22:23], s[24:25], v[22:23]
	v_fma_f64 v[2:3], s[24:25], v[20:21], -v[2:3]
	v_fmac_f64_e32 v[22:23], s[26:27], v[20:21]
	v_add_f64 v[2:3], v[26:27], v[2:3]
	v_add_f64 v[4:5], v[4:5], v[22:23]
	global_store_dwordx4 v[24:25], v[2:5], off
.LBB25_30:
	s_or_b64 exec, exec, s[2:3]
	s_waitcnt lgkmcnt(3)
	ds_bpermute_b32 v2, v7, v18
	s_waitcnt lgkmcnt(3)
	ds_bpermute_b32 v3, v7, v19
	s_waitcnt lgkmcnt(3)
	ds_bpermute_b32 v4, v7, v16
	s_waitcnt lgkmcnt(3)
	ds_bpermute_b32 v5, v7, v17
	v_or_b32_e32 v16, 4, v33
	v_cmp_lt_i32_e64 s[0:1], v16, v32
	s_and_b64 s[0:1], vcc, s[0:1]
	s_and_saveexec_b64 s[2:3], s[0:1]
	s_cbranch_execz .LBB25_32
; %bb.31:
	v_mad_u64_u32 v[16:17], s[0:1], v16, s4, v[0:1]
	v_ashrrev_i32_e32 v17, 31, v16
	v_lshlrev_b64 v[16:17], 4, v[16:17]
	v_add_co_u32_e64 v20, s[0:1], v1, v16
	v_addc_co_u32_e64 v21, s[0:1], v6, v17, s[0:1]
	global_load_dwordx4 v[16:19], v[20:21], off
	s_waitcnt lgkmcnt(0)
	v_mul_f64 v[22:23], s[30:31], v[4:5]
	v_mul_f64 v[4:5], s[28:29], v[4:5]
	v_fma_f64 v[22:23], s[28:29], v[2:3], -v[22:23]
	v_fmac_f64_e32 v[4:5], s[30:31], v[2:3]
	s_waitcnt vmcnt(0)
	v_mul_f64 v[2:3], s[26:27], v[18:19]
	v_mul_f64 v[18:19], s[24:25], v[18:19]
	v_fma_f64 v[2:3], s[24:25], v[16:17], -v[2:3]
	v_fmac_f64_e32 v[18:19], s[26:27], v[16:17]
	v_add_f64 v[2:3], v[22:23], v[2:3]
	v_add_f64 v[4:5], v[4:5], v[18:19]
	global_store_dwordx4 v[20:21], v[2:5], off
.LBB25_32:
	s_or_b64 exec, exec, s[2:3]
	s_waitcnt lgkmcnt(3)
	ds_bpermute_b32 v2, v7, v14
	s_waitcnt lgkmcnt(3)
	ds_bpermute_b32 v3, v7, v15
	s_waitcnt lgkmcnt(3)
	ds_bpermute_b32 v4, v7, v12
	s_waitcnt lgkmcnt(3)
	ds_bpermute_b32 v5, v7, v13
	v_or_b32_e32 v12, 8, v33
	v_cmp_lt_i32_e64 s[0:1], v12, v32
	;; [unrolled: 35-line block ×3, first 2 shown]
	s_and_b64 s[0:1], vcc, s[0:1]
	s_and_b64 exec, exec, s[0:1]
	s_cbranch_execz .LBB25_36
; %bb.35:
	v_mad_u64_u32 v[8:9], s[0:1], v7, s4, v[0:1]
	v_ashrrev_i32_e32 v9, 31, v8
	v_lshlrev_b64 v[8:9], 4, v[8:9]
	v_add_co_u32_e32 v10, vcc, v1, v8
	v_addc_co_u32_e32 v11, vcc, v6, v9, vcc
	global_load_dwordx4 v[6:9], v[10:11], off
	s_waitcnt lgkmcnt(0)
	v_mul_f64 v[0:1], s[30:31], v[4:5]
	v_mul_f64 v[4:5], s[28:29], v[4:5]
	v_fma_f64 v[0:1], s[28:29], v[2:3], -v[0:1]
	v_fmac_f64_e32 v[4:5], s[30:31], v[2:3]
	s_waitcnt vmcnt(0)
	v_mul_f64 v[2:3], s[26:27], v[8:9]
	v_mul_f64 v[8:9], s[24:25], v[8:9]
	v_fma_f64 v[2:3], s[24:25], v[6:7], -v[2:3]
	v_fmac_f64_e32 v[8:9], s[26:27], v[6:7]
	v_add_f64 v[0:1], v[0:1], v[2:3]
	v_add_f64 v[2:3], v[4:5], v[8:9]
	global_store_dwordx4 v[10:11], v[0:3], off
.LBB25_36:
	s_endpgm
	.section	.rodata,"a",@progbits
	.p2align	6, 0x0
	.amdhsa_kernel _ZN9rocsolver6v33100L16mfma_gemm_kernelI19rocblas_complex_numIdEiPKS3_PS3_PKS6_S6_EEv18rocblas_operation_S9_T0_SA_SA_T1_T2_lSA_SA_lT3_lSA_SA_lSB_T4_lSA_SA_l
		.amdhsa_group_segment_fixed_size 0
		.amdhsa_private_segment_fixed_size 0
		.amdhsa_kernarg_size 392
		.amdhsa_user_sgpr_count 6
		.amdhsa_user_sgpr_private_segment_buffer 1
		.amdhsa_user_sgpr_dispatch_ptr 0
		.amdhsa_user_sgpr_queue_ptr 0
		.amdhsa_user_sgpr_kernarg_segment_ptr 1
		.amdhsa_user_sgpr_dispatch_id 0
		.amdhsa_user_sgpr_flat_scratch_init 0
		.amdhsa_user_sgpr_kernarg_preload_length 0
		.amdhsa_user_sgpr_kernarg_preload_offset 0
		.amdhsa_user_sgpr_private_segment_size 0
		.amdhsa_uses_dynamic_stack 0
		.amdhsa_system_sgpr_private_segment_wavefront_offset 0
		.amdhsa_system_sgpr_workgroup_id_x 1
		.amdhsa_system_sgpr_workgroup_id_y 1
		.amdhsa_system_sgpr_workgroup_id_z 1
		.amdhsa_system_sgpr_workgroup_info 0
		.amdhsa_system_vgpr_workitem_id 1
		.amdhsa_next_free_vgpr 62
		.amdhsa_next_free_sgpr 48
		.amdhsa_accum_offset 64
		.amdhsa_reserve_vcc 1
		.amdhsa_reserve_flat_scratch 0
		.amdhsa_float_round_mode_32 0
		.amdhsa_float_round_mode_16_64 0
		.amdhsa_float_denorm_mode_32 3
		.amdhsa_float_denorm_mode_16_64 3
		.amdhsa_dx10_clamp 1
		.amdhsa_ieee_mode 1
		.amdhsa_fp16_overflow 0
		.amdhsa_tg_split 0
		.amdhsa_exception_fp_ieee_invalid_op 0
		.amdhsa_exception_fp_denorm_src 0
		.amdhsa_exception_fp_ieee_div_zero 0
		.amdhsa_exception_fp_ieee_overflow 0
		.amdhsa_exception_fp_ieee_underflow 0
		.amdhsa_exception_fp_ieee_inexact 0
		.amdhsa_exception_int_div_zero 0
	.end_amdhsa_kernel
	.section	.text._ZN9rocsolver6v33100L16mfma_gemm_kernelI19rocblas_complex_numIdEiPKS3_PS3_PKS6_S6_EEv18rocblas_operation_S9_T0_SA_SA_T1_T2_lSA_SA_lT3_lSA_SA_lSB_T4_lSA_SA_l,"axG",@progbits,_ZN9rocsolver6v33100L16mfma_gemm_kernelI19rocblas_complex_numIdEiPKS3_PS3_PKS6_S6_EEv18rocblas_operation_S9_T0_SA_SA_T1_T2_lSA_SA_lT3_lSA_SA_lSB_T4_lSA_SA_l,comdat
.Lfunc_end25:
	.size	_ZN9rocsolver6v33100L16mfma_gemm_kernelI19rocblas_complex_numIdEiPKS3_PS3_PKS6_S6_EEv18rocblas_operation_S9_T0_SA_SA_T1_T2_lSA_SA_lT3_lSA_SA_lSB_T4_lSA_SA_l, .Lfunc_end25-_ZN9rocsolver6v33100L16mfma_gemm_kernelI19rocblas_complex_numIdEiPKS3_PS3_PKS6_S6_EEv18rocblas_operation_S9_T0_SA_SA_T1_T2_lSA_SA_lT3_lSA_SA_lSB_T4_lSA_SA_l
                                        ; -- End function
	.section	.AMDGPU.csdata,"",@progbits
; Kernel info:
; codeLenInByte = 2472
; NumSgprs: 52
; NumVgprs: 62
; NumAgprs: 0
; TotalNumVgprs: 62
; ScratchSize: 0
; MemoryBound: 1
; FloatMode: 240
; IeeeMode: 1
; LDSByteSize: 0 bytes/workgroup (compile time only)
; SGPRBlocks: 6
; VGPRBlocks: 7
; NumSGPRsForWavesPerEU: 52
; NumVGPRsForWavesPerEU: 62
; AccumOffset: 64
; Occupancy: 8
; WaveLimiterHint : 1
; COMPUTE_PGM_RSRC2:SCRATCH_EN: 0
; COMPUTE_PGM_RSRC2:USER_SGPR: 6
; COMPUTE_PGM_RSRC2:TRAP_HANDLER: 0
; COMPUTE_PGM_RSRC2:TGID_X_EN: 1
; COMPUTE_PGM_RSRC2:TGID_Y_EN: 1
; COMPUTE_PGM_RSRC2:TGID_Z_EN: 1
; COMPUTE_PGM_RSRC2:TIDIG_COMP_CNT: 1
; COMPUTE_PGM_RSRC3_GFX90A:ACCUM_OFFSET: 15
; COMPUTE_PGM_RSRC3_GFX90A:TG_SPLIT: 0
	.section	.text._ZN9rocsolver6v33100L16mfma_gemm_kernelI19rocblas_complex_numIdEiS3_PS3_PKS4_S4_EEv18rocblas_operation_S7_T0_S8_S8_T1_T2_lS8_S8_lT3_lS8_S8_lS9_T4_lS8_S8_l,"axG",@progbits,_ZN9rocsolver6v33100L16mfma_gemm_kernelI19rocblas_complex_numIdEiS3_PS3_PKS4_S4_EEv18rocblas_operation_S7_T0_S8_S8_T1_T2_lS8_S8_lT3_lS8_S8_lS9_T4_lS8_S8_l,comdat
	.globl	_ZN9rocsolver6v33100L16mfma_gemm_kernelI19rocblas_complex_numIdEiS3_PS3_PKS4_S4_EEv18rocblas_operation_S7_T0_S8_S8_T1_T2_lS8_S8_lT3_lS8_S8_lS9_T4_lS8_S8_l ; -- Begin function _ZN9rocsolver6v33100L16mfma_gemm_kernelI19rocblas_complex_numIdEiS3_PS3_PKS4_S4_EEv18rocblas_operation_S7_T0_S8_S8_T1_T2_lS8_S8_lT3_lS8_S8_lS9_T4_lS8_S8_l
	.p2align	8
	.type	_ZN9rocsolver6v33100L16mfma_gemm_kernelI19rocblas_complex_numIdEiS3_PS3_PKS4_S4_EEv18rocblas_operation_S7_T0_S8_S8_T1_T2_lS8_S8_lT3_lS8_S8_lS9_T4_lS8_S8_l,@function
_ZN9rocsolver6v33100L16mfma_gemm_kernelI19rocblas_complex_numIdEiS3_PS3_PKS4_S4_EEv18rocblas_operation_S7_T0_S8_S8_T1_T2_lS8_S8_lT3_lS8_S8_lS9_T4_lS8_S8_l: ; @_ZN9rocsolver6v33100L16mfma_gemm_kernelI19rocblas_complex_numIdEiS3_PS3_PKS4_S4_EEv18rocblas_operation_S7_T0_S8_S8_T1_T2_lS8_S8_lT3_lS8_S8_lS9_T4_lS8_S8_l
; %bb.0:
	s_load_dword s0, s[4:5], 0xa4
	s_load_dwordx4 s[36:39], s[4:5], 0x0
	v_and_b32_e32 v34, 0x3ff, v0
	v_bfe_u32 v0, v0, 10, 10
	v_lshrrev_b32_e32 v1, 6, v34
	s_waitcnt lgkmcnt(0)
	s_lshr_b32 s1, s0, 16
	s_bfe_u32 s0, s0, 0xa0006
	s_mul_i32 s7, s7, s1
	s_mul_i32 s6, s6, s0
	v_add_u32_e32 v0, s7, v0
	v_add_lshl_u32 v36, s6, v1, 4
	v_lshlrev_b32_e32 v38, 4, v0
	v_cmp_gt_i32_e32 vcc, s38, v36
	v_cmp_gt_i32_e64 s[0:1], s39, v38
	s_and_b64 s[0:1], vcc, s[0:1]
	s_and_saveexec_b64 s[2:3], s[0:1]
	s_cbranch_execz .LBB26_36
; %bb.1:
	s_ashr_i32 s0, s38, 31
	s_lshr_b32 s0, s0, 28
	s_add_i32 s0, s38, s0
	s_and_b32 s0, s0, -16
	s_sub_i32 s0, s38, s0
	v_mov_b32_e32 v1, s0
	s_ashr_i32 s0, s39, 31
	s_lshr_b32 s0, s0, 28
	s_add_i32 s0, s39, s0
	s_load_dword s33, s[4:5], 0x10
	s_load_dwordx8 s[16:23], s[4:5], 0x18
	v_add_u32_e32 v0, 16, v36
	s_and_b32 s0, s0, -16
	v_cmp_lt_i32_e32 vcc, s38, v0
	v_add_u32_e32 v0, 16, v38
	s_sub_i32 s0, s39, s0
	v_cndmask_b32_e32 v32, 16, v1, vcc
	v_mov_b32_e32 v1, s0
	v_cmp_lt_i32_e32 vcc, s39, v0
	v_cndmask_b32_e32 v35, 16, v1, vcc
	s_ashr_i32 s9, s8, 31
	v_bfe_u32 v37, v34, 2, 4
	v_pk_mov_b32 v[20:21], 0, 0
	v_and_b32_e32 v33, 3, v34
	s_waitcnt lgkmcnt(0)
	s_cmp_lt_i32 s33, 1
	v_cmp_lt_i32_e64 s[0:1], v37, v35
	v_mbcnt_lo_u32_b32 v39, -1, 0
	v_pk_mov_b32 v[22:23], v[20:21], v[20:21] op_sel:[0,1]
	v_pk_mov_b32 v[8:9], v[20:21], v[20:21] op_sel:[0,1]
	;; [unrolled: 1-line block ×7, first 2 shown]
	s_cbranch_scc1 .LBB26_28
; %bb.2:
	s_load_dwordx8 s[24:31], s[4:5], 0x40
	v_and_b32_e32 v2, 63, v34
	v_lshrrev_b32_e32 v44, 4, v2
	v_pk_mov_b32 v[8:9], 0, 0
	v_pk_mov_b32 v[12:13], v[8:9], v[8:9] op_sel:[0,1]
	s_waitcnt lgkmcnt(0)
	s_mul_i32 s3, s8, s25
	s_mul_hi_u32 s6, s8, s24
	s_mul_i32 s7, s9, s24
	s_add_i32 s3, s6, s3
	s_mul_i32 s2, s8, s24
	s_add_i32 s3, s3, s7
	s_lshl_b64 s[2:3], s[2:3], 4
	s_add_u32 s6, s20, s2
	s_addc_u32 s7, s21, s3
	s_lshl_b64 s[2:3], s[22:23], 4
	s_add_u32 s10, s6, s2
	s_addc_u32 s11, s7, s3
	;; [unrolled: 3-line block ×3, first 2 shown]
	s_load_dwordx2 s[2:3], s[2:3], 0x0
	s_lshl_b64 s[6:7], s[28:29], 4
	s_load_dwordx2 s[24:25], s[4:5], 0x38
	v_mov_b32_e32 v3, s11
	v_pk_mov_b32 v[16:17], v[8:9], v[8:9] op_sel:[0,1]
	s_waitcnt lgkmcnt(0)
	s_add_u32 s2, s2, s6
	s_addc_u32 s3, s3, s7
	s_cmpk_lg_i32 s36, 0x6f
	s_cselect_b64 s[20:21], -1, 0
	s_cmpk_eq_i32 s36, 0x6f
	s_cselect_b32 s6, s24, s25
	v_mul_lo_u32 v0, v36, s6
	s_cmpk_lg_i32 s37, 0x6f
	v_ashrrev_i32_e32 v1, 31, v0
	s_cselect_b64 s[22:23], -1, 0
	s_cmpk_eq_i32 s37, 0x6f
	v_lshlrev_b64 v[0:1], 4, v[0:1]
	s_cselect_b32 s6, s31, s30
	v_add_co_u32_e32 v40, vcc, s10, v0
	v_mul_lo_u32 v0, v38, s6
	v_addc_co_u32_e32 v41, vcc, v3, v1, vcc
	v_ashrrev_i32_e32 v1, 31, v0
	v_lshlrev_b64 v[0:1], 4, v[0:1]
	v_mov_b32_e32 v3, s3
	v_add_co_u32_e32 v42, vcc, s2, v0
	v_addc_co_u32_e32 v43, vcc, v3, v1, vcc
	v_and_b32_e32 v1, 15, v34
	v_mul_lo_u32 v0, v1, s24
	s_cmpk_eq_i32 s36, 0x71
	v_mad_u64_u32 v[24:25], s[26:27], s25, v44, v[0:1]
	v_mul_lo_u32 v0, s24, v33
	s_cselect_b64 s[12:13], -1, 0
	s_cmpk_eq_i32 s37, 0x71
	v_mad_u64_u32 v[26:27], s[26:27], v37, s25, v[0:1]
	v_mul_lo_u32 v0, s30, v33
	v_lshl_or_b32 v3, v1, 2, v44
	s_cselect_b64 s[14:15], -1, 0
	s_lshl_b32 s34, s25, 2
	s_lshl_b32 s35, s24, 2
	v_mad_u64_u32 v[28:29], s[24:25], v37, s31, v[0:1]
	v_mbcnt_hi_u32_b32 v0, -1, v39
	v_mul_lo_u32 v2, v1, s30
	v_and_or_b32 v0, v0, 64, v3
	v_cmp_lt_i32_e64 s[2:3], v37, v32
	v_cmp_lt_i32_e64 s[6:7], v1, v32
	;; [unrolled: 1-line block ×3, first 2 shown]
	s_lshl_b32 s30, s30, 2
	v_mad_u64_u32 v[30:31], s[24:25], s31, v44, v[2:3]
	s_lshl_b32 s31, s31, 2
	s_mov_b32 s36, 0
	v_lshlrev_b32_e32 v45, 2, v0
	v_pk_mov_b32 v[10:11], v[8:9], v[8:9] op_sel:[0,1]
	v_pk_mov_b32 v[14:15], v[8:9], v[8:9] op_sel:[0,1]
	v_pk_mov_b32 v[18:19], v[8:9], v[8:9] op_sel:[0,1]
	v_pk_mov_b32 v[20:21], v[8:9], v[8:9] op_sel:[0,1]
	v_pk_mov_b32 v[22:23], v[8:9], v[8:9] op_sel:[0,1]
	s_branch .LBB26_6
.LBB26_3:                               ;   in Loop: Header=BB26_6 Depth=1
	s_or_b64 exec, exec, s[26:27]
.LBB26_4:                               ;   in Loop: Header=BB26_6 Depth=1
	s_or_b64 exec, exec, s[24:25]
	s_waitcnt vmcnt(0)
	ds_bpermute_b32 v4, v45, v4
	ds_bpermute_b32 v5, v45, v5
	;; [unrolled: 1-line block ×4, first 2 shown]
.LBB26_5:                               ;   in Loop: Header=BB26_6 Depth=1
	s_waitcnt vmcnt(0) lgkmcnt(0)
	v_xor_b32_e32 v25, 0x80000000, v3
	v_cndmask_b32_e64 v3, v3, v25, s[12:13]
	v_cndmask_b32_e64 v2, v2, v2, s[12:13]
	v_xor_b32_e32 v25, 0x80000000, v7
	v_cndmask_b32_e64 v7, v7, v25, s[14:15]
	v_cndmask_b32_e64 v6, v6, v6, s[14:15]
	v_mfma_f64_16x16x4f64 v[46:53], v[0:1], v[4:5], 0
	s_add_i32 s36, s36, 4
	s_cmp_ge_i32 s36, s33
	v_add_u32_e32 v24, s34, v24
	v_add_u32_e32 v26, s35, v26
	;; [unrolled: 1-line block ×4, first 2 shown]
	v_mfma_f64_16x16x4f64 v[54:61], v[2:3], v[6:7], 0
	s_nop 7
	s_nop 2
	v_add_f64 v[60:61], v[52:53], -v[60:61]
	v_add_f64 v[58:59], v[50:51], -v[58:59]
	;; [unrolled: 1-line block ×4, first 2 shown]
	v_add_f64 v[20:21], v[20:21], v[54:55]
	v_add_f64 v[18:19], v[18:19], v[56:57]
	;; [unrolled: 1-line block ×4, first 2 shown]
	v_mfma_f64_16x16x4f64 v[46:53], v[0:1], v[6:7], 0
	v_mfma_f64_16x16x4f64 v[0:7], v[2:3], v[4:5], 0
	s_nop 7
	s_nop 2
	v_add_f64 v[6:7], v[52:53], v[6:7]
	v_add_f64 v[4:5], v[50:51], v[4:5]
	;; [unrolled: 1-line block ×8, first 2 shown]
	s_cbranch_scc1 .LBB26_28
.LBB26_6:                               ; =>This Inner Loop Header: Depth=1
	s_and_b64 vcc, exec, s[20:21]
	s_cbranch_vccz .LBB26_18
; %bb.7:                                ;   in Loop: Header=BB26_6 Depth=1
	v_pk_mov_b32 v[0:1], 0, 0
	s_mov_b64 s[24:25], 0
	v_pk_mov_b32 v[2:3], v[0:1], v[0:1] op_sel:[0,1]
	s_and_saveexec_b64 s[26:27], s[2:3]
	s_cbranch_execz .LBB26_11
; %bb.8:                                ;   in Loop: Header=BB26_6 Depth=1
	v_add_u32_e32 v0, s36, v33
	v_pk_mov_b32 v[2:3], 0, 0
	v_cmp_gt_i32_e32 vcc, s33, v0
	v_pk_mov_b32 v[0:1], v[2:3], v[2:3] op_sel:[0,1]
	s_and_saveexec_b64 s[28:29], vcc
	s_cbranch_execz .LBB26_10
; %bb.9:                                ;   in Loop: Header=BB26_6 Depth=1
	v_ashrrev_i32_e32 v27, 31, v26
	v_lshlrev_b64 v[0:1], 4, v[26:27]
	v_add_co_u32_e32 v0, vcc, v40, v0
	v_addc_co_u32_e32 v1, vcc, v41, v1, vcc
	global_load_dwordx4 v[0:3], v[0:1], off
.LBB26_10:                              ;   in Loop: Header=BB26_6 Depth=1
	s_or_b64 exec, exec, s[28:29]
.LBB26_11:                              ;   in Loop: Header=BB26_6 Depth=1
	s_or_b64 exec, exec, s[26:27]
	s_waitcnt vmcnt(0)
	ds_bpermute_b32 v0, v45, v0
	ds_bpermute_b32 v1, v45, v1
	;; [unrolled: 1-line block ×4, first 2 shown]
	s_and_b64 vcc, exec, s[24:25]
	s_cbranch_vccnz .LBB26_19
.LBB26_12:                              ;   in Loop: Header=BB26_6 Depth=1
	s_and_b64 vcc, exec, s[22:23]
	s_cbranch_vccz .LBB26_24
.LBB26_13:                              ;   in Loop: Header=BB26_6 Depth=1
	v_pk_mov_b32 v[6:7], 0, 0
	s_mov_b64 s[24:25], 0
	v_pk_mov_b32 v[4:5], v[6:7], v[6:7] op_sel:[0,1]
	s_and_saveexec_b64 s[26:27], s[10:11]
	s_cbranch_execz .LBB26_17
; %bb.14:                               ;   in Loop: Header=BB26_6 Depth=1
	v_add_u32_e32 v4, s36, v44
	v_pk_mov_b32 v[6:7], 0, 0
	v_cmp_gt_i32_e32 vcc, s33, v4
	v_pk_mov_b32 v[4:5], v[6:7], v[6:7] op_sel:[0,1]
	s_and_saveexec_b64 s[28:29], vcc
	s_cbranch_execz .LBB26_16
; %bb.15:                               ;   in Loop: Header=BB26_6 Depth=1
	v_ashrrev_i32_e32 v31, 31, v30
	v_lshlrev_b64 v[4:5], 4, v[30:31]
	v_add_co_u32_e32 v4, vcc, v42, v4
	v_addc_co_u32_e32 v5, vcc, v43, v5, vcc
	global_load_dwordx4 v[4:7], v[4:5], off
.LBB26_16:                              ;   in Loop: Header=BB26_6 Depth=1
	s_or_b64 exec, exec, s[28:29]
.LBB26_17:                              ;   in Loop: Header=BB26_6 Depth=1
	s_or_b64 exec, exec, s[26:27]
	s_andn2_b64 vcc, exec, s[24:25]
	s_cbranch_vccnz .LBB26_5
	s_branch .LBB26_25
.LBB26_18:                              ;   in Loop: Header=BB26_6 Depth=1
                                        ; implicit-def: $vgpr2_vgpr3
	s_cbranch_execz .LBB26_12
.LBB26_19:                              ;   in Loop: Header=BB26_6 Depth=1
	s_waitcnt lgkmcnt(0)
	v_pk_mov_b32 v[2:3], 0, 0
	v_pk_mov_b32 v[0:1], v[2:3], v[2:3] op_sel:[0,1]
	s_and_saveexec_b64 s[24:25], s[6:7]
	s_cbranch_execz .LBB26_23
; %bb.20:                               ;   in Loop: Header=BB26_6 Depth=1
	v_add_u32_e32 v0, s36, v44
	v_pk_mov_b32 v[2:3], 0, 0
	v_cmp_gt_i32_e32 vcc, s33, v0
	v_pk_mov_b32 v[0:1], v[2:3], v[2:3] op_sel:[0,1]
	s_and_saveexec_b64 s[26:27], vcc
	s_cbranch_execz .LBB26_22
; %bb.21:                               ;   in Loop: Header=BB26_6 Depth=1
	v_ashrrev_i32_e32 v25, 31, v24
	v_lshlrev_b64 v[0:1], 4, v[24:25]
	v_add_co_u32_e32 v0, vcc, v40, v0
	v_addc_co_u32_e32 v1, vcc, v41, v1, vcc
	global_load_dwordx4 v[0:3], v[0:1], off
.LBB26_22:                              ;   in Loop: Header=BB26_6 Depth=1
	s_or_b64 exec, exec, s[26:27]
.LBB26_23:                              ;   in Loop: Header=BB26_6 Depth=1
	s_or_b64 exec, exec, s[24:25]
	s_and_b64 vcc, exec, s[22:23]
	s_cbranch_vccnz .LBB26_13
.LBB26_24:                              ;   in Loop: Header=BB26_6 Depth=1
                                        ; implicit-def: $vgpr6_vgpr7
.LBB26_25:                              ;   in Loop: Header=BB26_6 Depth=1
	s_waitcnt vmcnt(0)
	v_pk_mov_b32 v[4:5], 0, 0
	v_pk_mov_b32 v[6:7], v[4:5], v[4:5] op_sel:[0,1]
	s_and_saveexec_b64 s[24:25], s[0:1]
	s_cbranch_execz .LBB26_4
; %bb.26:                               ;   in Loop: Header=BB26_6 Depth=1
	v_add_u32_e32 v4, s36, v33
	v_pk_mov_b32 v[6:7], 0, 0
	v_cmp_gt_i32_e32 vcc, s33, v4
	v_pk_mov_b32 v[4:5], v[6:7], v[6:7] op_sel:[0,1]
	s_and_saveexec_b64 s[26:27], vcc
	s_cbranch_execz .LBB26_3
; %bb.27:                               ;   in Loop: Header=BB26_6 Depth=1
	v_ashrrev_i32_e32 v29, 31, v28
	v_lshlrev_b64 v[4:5], 4, v[28:29]
	v_add_co_u32_e32 v4, vcc, v42, v4
	v_addc_co_u32_e32 v5, vcc, v43, v5, vcc
	global_load_dwordx4 v[4:7], v[4:5], off
	s_branch .LBB26_3
.LBB26_28:
	s_load_dwordx8 s[20:27], s[4:5], 0x68
	s_nop 0
	s_load_dwordx4 s[4:7], s[4:5], 0x88
	s_waitcnt lgkmcnt(0)
	s_mul_i32 s1, s8, s7
	s_mul_hi_u32 s2, s8, s6
	s_mul_i32 s3, s9, s6
	s_add_i32 s1, s2, s1
	s_mul_i32 s0, s8, s6
	s_add_i32 s1, s1, s3
	s_lshl_b64 s[0:1], s[0:1], 4
	s_add_u32 s2, s24, s0
	s_addc_u32 s3, s25, s1
	s_lshl_b64 s[0:1], s[26:27], 4
	s_add_u32 s2, s2, s0
	v_mul_lo_u32 v0, v36, s4
	s_addc_u32 s3, s3, s1
	v_mad_u64_u32 v[0:1], s[0:1], v38, s5, v[0:1]
	v_ashrrev_i32_e32 v1, 31, v0
	v_lshlrev_b64 v[2:3], 4, v[0:1]
	v_mov_b32_e32 v0, s3
	v_add_co_u32_e32 v1, vcc, s2, v2
	v_addc_co_u32_e32 v6, vcc, v0, v3, vcc
	v_lshlrev_b32_e32 v0, 4, v34
	v_mbcnt_hi_u32_b32 v2, -1, v39
	v_and_b32_e32 v0, 48, v0
	v_and_b32_e32 v2, 64, v2
	v_or3_b32 v0, v0, v2, v37
	v_lshlrev_b32_e32 v7, 2, v0
	ds_bpermute_b32 v2, v7, v20
	ds_bpermute_b32 v3, v7, v21
	;; [unrolled: 1-line block ×4, first 2 shown]
	v_cmp_lt_i32_e32 vcc, v37, v35
	v_cmp_lt_i32_e64 s[0:1], v33, v32
	v_mul_lo_u32 v0, v37, s5
	s_and_b64 s[0:1], vcc, s[0:1]
	s_and_saveexec_b64 s[2:3], s[0:1]
	s_cbranch_execz .LBB26_30
; %bb.29:
	v_mad_u64_u32 v[20:21], s[0:1], v33, s4, v[0:1]
	v_ashrrev_i32_e32 v21, 31, v20
	v_lshlrev_b64 v[20:21], 4, v[20:21]
	v_add_co_u32_e64 v24, s[0:1], v1, v20
	v_addc_co_u32_e64 v25, s[0:1], v6, v21, s[0:1]
	global_load_dwordx4 v[20:23], v[24:25], off
	s_waitcnt lgkmcnt(0)
	v_mul_f64 v[26:27], s[18:19], v[4:5]
	v_mul_f64 v[4:5], s[16:17], v[4:5]
	v_fma_f64 v[26:27], s[16:17], v[2:3], -v[26:27]
	v_fmac_f64_e32 v[4:5], s[18:19], v[2:3]
	s_waitcnt vmcnt(0)
	v_mul_f64 v[2:3], s[22:23], v[22:23]
	v_mul_f64 v[22:23], s[20:21], v[22:23]
	v_fma_f64 v[2:3], s[20:21], v[20:21], -v[2:3]
	v_fmac_f64_e32 v[22:23], s[22:23], v[20:21]
	v_add_f64 v[2:3], v[26:27], v[2:3]
	v_add_f64 v[4:5], v[4:5], v[22:23]
	global_store_dwordx4 v[24:25], v[2:5], off
.LBB26_30:
	s_or_b64 exec, exec, s[2:3]
	s_waitcnt lgkmcnt(3)
	ds_bpermute_b32 v2, v7, v18
	s_waitcnt lgkmcnt(3)
	ds_bpermute_b32 v3, v7, v19
	s_waitcnt lgkmcnt(3)
	ds_bpermute_b32 v4, v7, v16
	s_waitcnt lgkmcnt(3)
	ds_bpermute_b32 v5, v7, v17
	v_or_b32_e32 v16, 4, v33
	v_cmp_lt_i32_e64 s[0:1], v16, v32
	s_and_b64 s[0:1], vcc, s[0:1]
	s_and_saveexec_b64 s[2:3], s[0:1]
	s_cbranch_execz .LBB26_32
; %bb.31:
	v_mad_u64_u32 v[16:17], s[0:1], v16, s4, v[0:1]
	v_ashrrev_i32_e32 v17, 31, v16
	v_lshlrev_b64 v[16:17], 4, v[16:17]
	v_add_co_u32_e64 v20, s[0:1], v1, v16
	v_addc_co_u32_e64 v21, s[0:1], v6, v17, s[0:1]
	global_load_dwordx4 v[16:19], v[20:21], off
	s_waitcnt lgkmcnt(0)
	v_mul_f64 v[22:23], s[18:19], v[4:5]
	v_mul_f64 v[4:5], s[16:17], v[4:5]
	v_fma_f64 v[22:23], s[16:17], v[2:3], -v[22:23]
	v_fmac_f64_e32 v[4:5], s[18:19], v[2:3]
	s_waitcnt vmcnt(0)
	v_mul_f64 v[2:3], s[22:23], v[18:19]
	v_mul_f64 v[18:19], s[20:21], v[18:19]
	v_fma_f64 v[2:3], s[20:21], v[16:17], -v[2:3]
	v_fmac_f64_e32 v[18:19], s[22:23], v[16:17]
	v_add_f64 v[2:3], v[22:23], v[2:3]
	v_add_f64 v[4:5], v[4:5], v[18:19]
	global_store_dwordx4 v[20:21], v[2:5], off
.LBB26_32:
	s_or_b64 exec, exec, s[2:3]
	s_waitcnt lgkmcnt(3)
	ds_bpermute_b32 v2, v7, v14
	s_waitcnt lgkmcnt(3)
	ds_bpermute_b32 v3, v7, v15
	s_waitcnt lgkmcnt(3)
	ds_bpermute_b32 v4, v7, v12
	s_waitcnt lgkmcnt(3)
	ds_bpermute_b32 v5, v7, v13
	v_or_b32_e32 v12, 8, v33
	v_cmp_lt_i32_e64 s[0:1], v12, v32
	;; [unrolled: 35-line block ×3, first 2 shown]
	s_and_b64 s[0:1], vcc, s[0:1]
	s_and_b64 exec, exec, s[0:1]
	s_cbranch_execz .LBB26_36
; %bb.35:
	v_mad_u64_u32 v[8:9], s[0:1], v7, s4, v[0:1]
	v_ashrrev_i32_e32 v9, 31, v8
	v_lshlrev_b64 v[8:9], 4, v[8:9]
	v_add_co_u32_e32 v10, vcc, v1, v8
	v_addc_co_u32_e32 v11, vcc, v6, v9, vcc
	global_load_dwordx4 v[6:9], v[10:11], off
	s_waitcnt lgkmcnt(0)
	v_mul_f64 v[0:1], s[18:19], v[4:5]
	v_mul_f64 v[4:5], s[16:17], v[4:5]
	v_fma_f64 v[0:1], s[16:17], v[2:3], -v[0:1]
	v_fmac_f64_e32 v[4:5], s[18:19], v[2:3]
	s_waitcnt vmcnt(0)
	v_mul_f64 v[2:3], s[22:23], v[8:9]
	v_mul_f64 v[8:9], s[20:21], v[8:9]
	v_fma_f64 v[2:3], s[20:21], v[6:7], -v[2:3]
	v_fmac_f64_e32 v[8:9], s[22:23], v[6:7]
	v_add_f64 v[0:1], v[0:1], v[2:3]
	v_add_f64 v[2:3], v[4:5], v[8:9]
	global_store_dwordx4 v[10:11], v[0:3], off
.LBB26_36:
	s_endpgm
	.section	.rodata,"a",@progbits
	.p2align	6, 0x0
	.amdhsa_kernel _ZN9rocsolver6v33100L16mfma_gemm_kernelI19rocblas_complex_numIdEiS3_PS3_PKS4_S4_EEv18rocblas_operation_S7_T0_S8_S8_T1_T2_lS8_S8_lT3_lS8_S8_lS9_T4_lS8_S8_l
		.amdhsa_group_segment_fixed_size 0
		.amdhsa_private_segment_fixed_size 0
		.amdhsa_kernarg_size 408
		.amdhsa_user_sgpr_count 6
		.amdhsa_user_sgpr_private_segment_buffer 1
		.amdhsa_user_sgpr_dispatch_ptr 0
		.amdhsa_user_sgpr_queue_ptr 0
		.amdhsa_user_sgpr_kernarg_segment_ptr 1
		.amdhsa_user_sgpr_dispatch_id 0
		.amdhsa_user_sgpr_flat_scratch_init 0
		.amdhsa_user_sgpr_kernarg_preload_length 0
		.amdhsa_user_sgpr_kernarg_preload_offset 0
		.amdhsa_user_sgpr_private_segment_size 0
		.amdhsa_uses_dynamic_stack 0
		.amdhsa_system_sgpr_private_segment_wavefront_offset 0
		.amdhsa_system_sgpr_workgroup_id_x 1
		.amdhsa_system_sgpr_workgroup_id_y 1
		.amdhsa_system_sgpr_workgroup_id_z 1
		.amdhsa_system_sgpr_workgroup_info 0
		.amdhsa_system_vgpr_workitem_id 1
		.amdhsa_next_free_vgpr 62
		.amdhsa_next_free_sgpr 40
		.amdhsa_accum_offset 64
		.amdhsa_reserve_vcc 1
		.amdhsa_reserve_flat_scratch 0
		.amdhsa_float_round_mode_32 0
		.amdhsa_float_round_mode_16_64 0
		.amdhsa_float_denorm_mode_32 3
		.amdhsa_float_denorm_mode_16_64 3
		.amdhsa_dx10_clamp 1
		.amdhsa_ieee_mode 1
		.amdhsa_fp16_overflow 0
		.amdhsa_tg_split 0
		.amdhsa_exception_fp_ieee_invalid_op 0
		.amdhsa_exception_fp_denorm_src 0
		.amdhsa_exception_fp_ieee_div_zero 0
		.amdhsa_exception_fp_ieee_overflow 0
		.amdhsa_exception_fp_ieee_underflow 0
		.amdhsa_exception_fp_ieee_inexact 0
		.amdhsa_exception_int_div_zero 0
	.end_amdhsa_kernel
	.section	.text._ZN9rocsolver6v33100L16mfma_gemm_kernelI19rocblas_complex_numIdEiS3_PS3_PKS4_S4_EEv18rocblas_operation_S7_T0_S8_S8_T1_T2_lS8_S8_lT3_lS8_S8_lS9_T4_lS8_S8_l,"axG",@progbits,_ZN9rocsolver6v33100L16mfma_gemm_kernelI19rocblas_complex_numIdEiS3_PS3_PKS4_S4_EEv18rocblas_operation_S7_T0_S8_S8_T1_T2_lS8_S8_lT3_lS8_S8_lS9_T4_lS8_S8_l,comdat
.Lfunc_end26:
	.size	_ZN9rocsolver6v33100L16mfma_gemm_kernelI19rocblas_complex_numIdEiS3_PS3_PKS4_S4_EEv18rocblas_operation_S7_T0_S8_S8_T1_T2_lS8_S8_lT3_lS8_S8_lS9_T4_lS8_S8_l, .Lfunc_end26-_ZN9rocsolver6v33100L16mfma_gemm_kernelI19rocblas_complex_numIdEiS3_PS3_PKS4_S4_EEv18rocblas_operation_S7_T0_S8_S8_T1_T2_lS8_S8_lT3_lS8_S8_lS9_T4_lS8_S8_l
                                        ; -- End function
	.section	.AMDGPU.csdata,"",@progbits
; Kernel info:
; codeLenInByte = 2452
; NumSgprs: 44
; NumVgprs: 62
; NumAgprs: 0
; TotalNumVgprs: 62
; ScratchSize: 0
; MemoryBound: 1
; FloatMode: 240
; IeeeMode: 1
; LDSByteSize: 0 bytes/workgroup (compile time only)
; SGPRBlocks: 5
; VGPRBlocks: 7
; NumSGPRsForWavesPerEU: 44
; NumVGPRsForWavesPerEU: 62
; AccumOffset: 64
; Occupancy: 8
; WaveLimiterHint : 1
; COMPUTE_PGM_RSRC2:SCRATCH_EN: 0
; COMPUTE_PGM_RSRC2:USER_SGPR: 6
; COMPUTE_PGM_RSRC2:TRAP_HANDLER: 0
; COMPUTE_PGM_RSRC2:TGID_X_EN: 1
; COMPUTE_PGM_RSRC2:TGID_Y_EN: 1
; COMPUTE_PGM_RSRC2:TGID_Z_EN: 1
; COMPUTE_PGM_RSRC2:TIDIG_COMP_CNT: 1
; COMPUTE_PGM_RSRC3_GFX90A:ACCUM_OFFSET: 15
; COMPUTE_PGM_RSRC3_GFX90A:TG_SPLIT: 0
	.section	.text._ZN9rocsolver6v33100L11gemm_kernelI19rocblas_complex_numIdEiPKS3_PS3_PKS6_S6_EEvT0_S9_S9_T1_bT2_lS9_S9_lbT3_lS9_S9_lSA_T4_lS9_S9_l,"axG",@progbits,_ZN9rocsolver6v33100L11gemm_kernelI19rocblas_complex_numIdEiPKS3_PS3_PKS6_S6_EEvT0_S9_S9_T1_bT2_lS9_S9_lbT3_lS9_S9_lSA_T4_lS9_S9_l,comdat
	.globl	_ZN9rocsolver6v33100L11gemm_kernelI19rocblas_complex_numIdEiPKS3_PS3_PKS6_S6_EEvT0_S9_S9_T1_bT2_lS9_S9_lbT3_lS9_S9_lSA_T4_lS9_S9_l ; -- Begin function _ZN9rocsolver6v33100L11gemm_kernelI19rocblas_complex_numIdEiPKS3_PS3_PKS6_S6_EEvT0_S9_S9_T1_bT2_lS9_S9_lbT3_lS9_S9_lSA_T4_lS9_S9_l
	.p2align	8
	.type	_ZN9rocsolver6v33100L11gemm_kernelI19rocblas_complex_numIdEiPKS3_PS3_PKS6_S6_EEvT0_S9_S9_T1_bT2_lS9_S9_lbT3_lS9_S9_lSA_T4_lS9_S9_l,@function
_ZN9rocsolver6v33100L11gemm_kernelI19rocblas_complex_numIdEiPKS3_PS3_PKS6_S6_EEvT0_S9_S9_T1_bT2_lS9_S9_lbT3_lS9_S9_lSA_T4_lS9_S9_l: ; @_ZN9rocsolver6v33100L11gemm_kernelI19rocblas_complex_numIdEiPKS3_PS3_PKS6_S6_EEvT0_S9_S9_T1_bT2_lS9_S9_lbT3_lS9_S9_lSA_T4_lS9_S9_l
; %bb.0:
	s_load_dword s0, s[4:5], 0x9c
	s_load_dwordx4 s[24:27], s[4:5], 0x0
	v_and_b32_e32 v1, 0x3ff, v0
	v_bfe_u32 v0, v0, 10, 10
	s_waitcnt lgkmcnt(0)
	s_lshr_b32 s1, s0, 16
	s_and_b32 s0, s0, 0xffff
	s_mul_i32 s6, s6, s0
	s_mul_i32 s7, s7, s1
	v_add_u32_e32 v8, s6, v1
	v_add_u32_e32 v9, s7, v0
	v_cmp_gt_i32_e32 vcc, s24, v8
	v_cmp_gt_i32_e64 s[0:1], s25, v9
	s_and_b64 s[0:1], vcc, s[0:1]
	s_and_saveexec_b64 s[2:3], s[0:1]
	s_cbranch_execz .LBB27_5
; %bb.1:
	s_load_dwordx2 s[6:7], s[4:5], 0x78
	s_load_dwordx2 s[10:11], s[4:5], 0x10
	s_load_dwordx4 s[20:23], s[4:5], 0x68
	s_ashr_i32 s9, s8, 31
	v_pk_mov_b32 v[0:1], 0, 0
	s_cmp_lt_i32 s26, 1
	v_pk_mov_b32 v[2:3], v[0:1], v[0:1] op_sel:[0,1]
	s_cbranch_scc1 .LBB27_4
; %bb.2:
	s_load_dwordx4 s[28:31], s[4:5], 0x48
	s_load_dword s2, s[4:5], 0x40
	s_load_dword s3, s[4:5], 0x18
	s_load_dwordx8 s[12:19], s[4:5], 0x20
	s_lshl_b64 s[0:1], s[8:9], 3
	s_waitcnt lgkmcnt(0)
	s_add_u32 s0, s28, s0
	s_addc_u32 s1, s29, s1
	s_bitcmp1_b32 s3, 0
	s_cselect_b64 vcc, -1, 0
	s_bitcmp1_b32 s2, 0
	s_mul_i32 s2, s18, s9
	s_mul_hi_u32 s3, s18, s8
	s_load_dwordx2 s[24:25], s[0:1], 0x0
	s_cselect_b64 s[0:1], -1, 0
	s_add_i32 s2, s3, s2
	s_mul_i32 s3, s19, s8
	s_add_i32 s3, s2, s3
	s_mul_i32 s2, s18, s8
	s_lshl_b64 s[2:3], s[2:3], 4
	s_lshl_b64 s[14:15], s[14:15], 4
	s_add_u32 s2, s2, s14
	v_mul_lo_u32 v0, v8, s16
	s_addc_u32 s3, s3, s15
	v_ashrrev_i32_e32 v1, 31, v0
	s_add_u32 s2, s12, s2
	v_lshlrev_b64 v[0:1], 4, v[0:1]
	s_addc_u32 s3, s13, s3
	s_load_dwordx2 s[28:29], s[4:5], 0x58
	v_mov_b32_e32 v3, s3
	v_add_co_u32_e64 v0, s[2:3], s2, v0
	v_addc_co_u32_e64 v1, s[2:3], v3, v1, s[2:3]
	v_add_co_u32_e64 v4, s[2:3], 8, v0
	v_addc_co_u32_e64 v5, s[2:3], 0, v1, s[2:3]
	s_ashr_i32 s3, s17, 31
	s_mov_b32 s2, s17
	s_waitcnt lgkmcnt(0)
	v_mul_lo_u32 v2, v9, s29
	s_lshl_b64 s[12:13], s[2:3], 4
	s_lshl_b64 s[2:3], s[30:31], 4
	v_ashrrev_i32_e32 v3, 31, v2
	s_add_u32 s2, s24, s2
	v_lshlrev_b64 v[0:1], 4, v[2:3]
	s_addc_u32 s3, s25, s3
	v_mov_b32_e32 v2, s3
	v_add_co_u32_e64 v0, s[2:3], s2, v0
	v_addc_co_u32_e64 v1, s[2:3], v2, v1, s[2:3]
	v_add_co_u32_e64 v6, s[2:3], 8, v0
	s_ashr_i32 s29, s28, 31
	v_addc_co_u32_e64 v7, s[2:3], 0, v1, s[2:3]
	s_lshl_b64 s[14:15], s[28:29], 4
	v_pk_mov_b32 v[0:1], 0, 0
	v_mov_b32_e32 v10, s13
	v_mov_b32_e32 v11, s15
	v_pk_mov_b32 v[2:3], v[0:1], v[0:1] op_sel:[0,1]
.LBB27_3:                               ; =>This Inner Loop Header: Depth=1
	global_load_dwordx4 v[12:15], v[4:5], off offset:-8
	global_load_dwordx4 v[16:19], v[6:7], off offset:-8
	v_add_co_u32_e64 v4, s[2:3], s12, v4
	v_addc_co_u32_e64 v5, s[2:3], v5, v10, s[2:3]
	s_add_i32 s26, s26, -1
	v_add_co_u32_e64 v6, s[2:3], s14, v6
	v_addc_co_u32_e64 v7, s[2:3], v7, v11, s[2:3]
	s_cmp_eq_u32 s26, 0
	s_waitcnt vmcnt(1)
	v_xor_b32_e32 v20, 0x80000000, v15
	s_waitcnt vmcnt(0)
	v_xor_b32_e32 v21, 0x80000000, v19
	v_cndmask_b32_e32 v15, v15, v20, vcc
	v_cndmask_b32_e64 v19, v19, v21, s[0:1]
	v_mul_f64 v[20:21], v[14:15], v[18:19]
	v_mul_f64 v[14:15], v[14:15], v[16:17]
	v_fma_f64 v[16:17], v[12:13], v[16:17], -v[20:21]
	v_fmac_f64_e32 v[14:15], v[12:13], v[18:19]
	v_add_f64 v[2:3], v[2:3], v[16:17]
	v_add_f64 v[0:1], v[0:1], v[14:15]
	s_cbranch_scc0 .LBB27_3
.LBB27_4:
	s_waitcnt lgkmcnt(0)
	s_load_dwordx4 s[12:15], s[10:11], 0x0
	s_load_dwordx4 s[0:3], s[20:21], 0x0
                                        ; kill: killed $sgpr20_sgpr21
                                        ; kill: killed $sgpr10_sgpr11
	s_load_dwordx4 s[16:19], s[4:5], 0x80
	s_waitcnt lgkmcnt(0)
	v_mul_f64 v[10:11], s[14:15], v[0:1]
	v_mul_f64 v[12:13], s[12:13], v[0:1]
	v_fma_f64 v[0:1], s[12:13], v[2:3], -v[10:11]
	v_fmac_f64_e32 v[12:13], s[14:15], v[2:3]
	s_mul_i32 s5, s8, s19
	s_mul_hi_u32 s10, s8, s18
	s_mul_i32 s9, s9, s18
	s_add_i32 s5, s10, s5
	s_mul_i32 s4, s8, s18
	s_add_i32 s5, s5, s9
	s_lshl_b64 s[4:5], s[4:5], 4
	s_add_u32 s8, s22, s4
	s_addc_u32 s9, s23, s5
	s_lshl_b64 s[4:5], s[6:7], 4
	s_add_u32 s6, s8, s4
	v_mul_lo_u32 v4, v8, s16
	s_addc_u32 s7, s9, s5
	v_mad_u64_u32 v[4:5], s[4:5], v9, s17, v[4:5]
	v_ashrrev_i32_e32 v5, 31, v4
	v_lshlrev_b64 v[4:5], 4, v[4:5]
	v_mov_b32_e32 v6, s7
	v_add_co_u32_e32 v8, vcc, s6, v4
	v_addc_co_u32_e32 v9, vcc, v6, v5, vcc
	global_load_dwordx4 v[4:7], v[8:9], off
	s_waitcnt vmcnt(0)
	v_mul_f64 v[2:3], s[2:3], v[6:7]
	v_mul_f64 v[6:7], s[0:1], v[6:7]
	v_fma_f64 v[2:3], s[0:1], v[4:5], -v[2:3]
	v_fmac_f64_e32 v[6:7], s[2:3], v[4:5]
	v_add_f64 v[0:1], v[0:1], v[2:3]
	v_add_f64 v[2:3], v[12:13], v[6:7]
	global_store_dwordx4 v[8:9], v[0:3], off
.LBB27_5:
	s_endpgm
	.section	.rodata,"a",@progbits
	.p2align	6, 0x0
	.amdhsa_kernel _ZN9rocsolver6v33100L11gemm_kernelI19rocblas_complex_numIdEiPKS3_PS3_PKS6_S6_EEvT0_S9_S9_T1_bT2_lS9_S9_lbT3_lS9_S9_lSA_T4_lS9_S9_l
		.amdhsa_group_segment_fixed_size 0
		.amdhsa_private_segment_fixed_size 0
		.amdhsa_kernarg_size 400
		.amdhsa_user_sgpr_count 6
		.amdhsa_user_sgpr_private_segment_buffer 1
		.amdhsa_user_sgpr_dispatch_ptr 0
		.amdhsa_user_sgpr_queue_ptr 0
		.amdhsa_user_sgpr_kernarg_segment_ptr 1
		.amdhsa_user_sgpr_dispatch_id 0
		.amdhsa_user_sgpr_flat_scratch_init 0
		.amdhsa_user_sgpr_kernarg_preload_length 0
		.amdhsa_user_sgpr_kernarg_preload_offset 0
		.amdhsa_user_sgpr_private_segment_size 0
		.amdhsa_uses_dynamic_stack 0
		.amdhsa_system_sgpr_private_segment_wavefront_offset 0
		.amdhsa_system_sgpr_workgroup_id_x 1
		.amdhsa_system_sgpr_workgroup_id_y 1
		.amdhsa_system_sgpr_workgroup_id_z 1
		.amdhsa_system_sgpr_workgroup_info 0
		.amdhsa_system_vgpr_workitem_id 1
		.amdhsa_next_free_vgpr 22
		.amdhsa_next_free_sgpr 32
		.amdhsa_accum_offset 24
		.amdhsa_reserve_vcc 1
		.amdhsa_reserve_flat_scratch 0
		.amdhsa_float_round_mode_32 0
		.amdhsa_float_round_mode_16_64 0
		.amdhsa_float_denorm_mode_32 3
		.amdhsa_float_denorm_mode_16_64 3
		.amdhsa_dx10_clamp 1
		.amdhsa_ieee_mode 1
		.amdhsa_fp16_overflow 0
		.amdhsa_tg_split 0
		.amdhsa_exception_fp_ieee_invalid_op 0
		.amdhsa_exception_fp_denorm_src 0
		.amdhsa_exception_fp_ieee_div_zero 0
		.amdhsa_exception_fp_ieee_overflow 0
		.amdhsa_exception_fp_ieee_underflow 0
		.amdhsa_exception_fp_ieee_inexact 0
		.amdhsa_exception_int_div_zero 0
	.end_amdhsa_kernel
	.section	.text._ZN9rocsolver6v33100L11gemm_kernelI19rocblas_complex_numIdEiPKS3_PS3_PKS6_S6_EEvT0_S9_S9_T1_bT2_lS9_S9_lbT3_lS9_S9_lSA_T4_lS9_S9_l,"axG",@progbits,_ZN9rocsolver6v33100L11gemm_kernelI19rocblas_complex_numIdEiPKS3_PS3_PKS6_S6_EEvT0_S9_S9_T1_bT2_lS9_S9_lbT3_lS9_S9_lSA_T4_lS9_S9_l,comdat
.Lfunc_end27:
	.size	_ZN9rocsolver6v33100L11gemm_kernelI19rocblas_complex_numIdEiPKS3_PS3_PKS6_S6_EEvT0_S9_S9_T1_bT2_lS9_S9_lbT3_lS9_S9_lSA_T4_lS9_S9_l, .Lfunc_end27-_ZN9rocsolver6v33100L11gemm_kernelI19rocblas_complex_numIdEiPKS3_PS3_PKS6_S6_EEvT0_S9_S9_T1_bT2_lS9_S9_lbT3_lS9_S9_lSA_T4_lS9_S9_l
                                        ; -- End function
	.section	.AMDGPU.csdata,"",@progbits
; Kernel info:
; codeLenInByte = 796
; NumSgprs: 36
; NumVgprs: 22
; NumAgprs: 0
; TotalNumVgprs: 22
; ScratchSize: 0
; MemoryBound: 0
; FloatMode: 240
; IeeeMode: 1
; LDSByteSize: 0 bytes/workgroup (compile time only)
; SGPRBlocks: 4
; VGPRBlocks: 2
; NumSGPRsForWavesPerEU: 36
; NumVGPRsForWavesPerEU: 22
; AccumOffset: 24
; Occupancy: 8
; WaveLimiterHint : 1
; COMPUTE_PGM_RSRC2:SCRATCH_EN: 0
; COMPUTE_PGM_RSRC2:USER_SGPR: 6
; COMPUTE_PGM_RSRC2:TRAP_HANDLER: 0
; COMPUTE_PGM_RSRC2:TGID_X_EN: 1
; COMPUTE_PGM_RSRC2:TGID_Y_EN: 1
; COMPUTE_PGM_RSRC2:TGID_Z_EN: 1
; COMPUTE_PGM_RSRC2:TIDIG_COMP_CNT: 1
; COMPUTE_PGM_RSRC3_GFX90A:ACCUM_OFFSET: 5
; COMPUTE_PGM_RSRC3_GFX90A:TG_SPLIT: 0
	.section	.text._ZN9rocsolver6v33100L11gemm_kernelI19rocblas_complex_numIdEiS3_PS3_PKS4_S4_EEvT0_S7_S7_T1_bT2_lS7_S7_lbT3_lS7_S7_lS8_T4_lS7_S7_l,"axG",@progbits,_ZN9rocsolver6v33100L11gemm_kernelI19rocblas_complex_numIdEiS3_PS3_PKS4_S4_EEvT0_S7_S7_T1_bT2_lS7_S7_lbT3_lS7_S7_lS8_T4_lS7_S7_l,comdat
	.globl	_ZN9rocsolver6v33100L11gemm_kernelI19rocblas_complex_numIdEiS3_PS3_PKS4_S4_EEvT0_S7_S7_T1_bT2_lS7_S7_lbT3_lS7_S7_lS8_T4_lS7_S7_l ; -- Begin function _ZN9rocsolver6v33100L11gemm_kernelI19rocblas_complex_numIdEiS3_PS3_PKS4_S4_EEvT0_S7_S7_T1_bT2_lS7_S7_lbT3_lS7_S7_lS8_T4_lS7_S7_l
	.p2align	8
	.type	_ZN9rocsolver6v33100L11gemm_kernelI19rocblas_complex_numIdEiS3_PS3_PKS4_S4_EEvT0_S7_S7_T1_bT2_lS7_S7_lbT3_lS7_S7_lS8_T4_lS7_S7_l,@function
_ZN9rocsolver6v33100L11gemm_kernelI19rocblas_complex_numIdEiS3_PS3_PKS4_S4_EEvT0_S7_S7_T1_bT2_lS7_S7_lbT3_lS7_S7_lS8_T4_lS7_S7_l: ; @_ZN9rocsolver6v33100L11gemm_kernelI19rocblas_complex_numIdEiS3_PS3_PKS4_S4_EEvT0_S7_S7_T1_bT2_lS7_S7_lbT3_lS7_S7_lS8_T4_lS7_S7_l
; %bb.0:
	s_load_dword s0, s[4:5], 0xac
	s_load_dwordx4 s[20:23], s[4:5], 0x0
	v_and_b32_e32 v1, 0x3ff, v0
	v_bfe_u32 v0, v0, 10, 10
	s_waitcnt lgkmcnt(0)
	s_lshr_b32 s1, s0, 16
	s_and_b32 s0, s0, 0xffff
	s_mul_i32 s6, s6, s0
	s_mul_i32 s7, s7, s1
	v_add_u32_e32 v8, s6, v1
	v_add_u32_e32 v9, s7, v0
	v_cmp_gt_i32_e32 vcc, s20, v8
	v_cmp_gt_i32_e64 s[0:1], s21, v9
	s_and_b64 s[0:1], vcc, s[0:1]
	s_and_saveexec_b64 s[2:3], s[0:1]
	s_cbranch_execz .LBB28_5
; %bb.1:
	s_ashr_i32 s9, s8, 31
	v_pk_mov_b32 v[0:1], 0, 0
	s_cmp_lt_i32 s22, 1
	v_pk_mov_b32 v[2:3], v[0:1], v[0:1] op_sel:[0,1]
	s_cbranch_scc1 .LBB28_4
; %bb.2:
	s_load_dwordx4 s[24:27], s[4:5], 0x50
	s_load_dword s2, s[4:5], 0x48
	s_load_dword s3, s[4:5], 0x20
	s_load_dwordx8 s[12:19], s[4:5], 0x28
	s_lshl_b64 s[0:1], s[8:9], 3
	s_waitcnt lgkmcnt(0)
	s_add_u32 s0, s24, s0
	s_addc_u32 s1, s25, s1
	s_bitcmp1_b32 s3, 0
	s_cselect_b64 vcc, -1, 0
	s_bitcmp1_b32 s2, 0
	s_mul_i32 s2, s18, s9
	s_mul_hi_u32 s3, s18, s8
	s_load_dwordx2 s[10:11], s[0:1], 0x0
	s_cselect_b64 s[0:1], -1, 0
	s_add_i32 s2, s3, s2
	s_mul_i32 s3, s19, s8
	s_add_i32 s3, s2, s3
	s_mul_i32 s2, s18, s8
	s_lshl_b64 s[2:3], s[2:3], 4
	s_lshl_b64 s[6:7], s[14:15], 4
	s_add_u32 s2, s2, s6
	v_mul_lo_u32 v0, v8, s16
	s_addc_u32 s3, s3, s7
	v_ashrrev_i32_e32 v1, 31, v0
	s_add_u32 s2, s12, s2
	v_lshlrev_b64 v[0:1], 4, v[0:1]
	s_addc_u32 s3, s13, s3
	s_load_dwordx2 s[20:21], s[4:5], 0x60
	v_mov_b32_e32 v3, s3
	v_add_co_u32_e64 v0, s[2:3], s2, v0
	v_addc_co_u32_e64 v1, s[2:3], v3, v1, s[2:3]
	v_add_co_u32_e64 v4, s[2:3], 8, v0
	v_addc_co_u32_e64 v5, s[2:3], 0, v1, s[2:3]
	s_ashr_i32 s3, s17, 31
	s_mov_b32 s2, s17
	s_waitcnt lgkmcnt(0)
	v_mul_lo_u32 v2, v9, s21
	s_lshl_b64 s[6:7], s[2:3], 4
	s_lshl_b64 s[2:3], s[26:27], 4
	v_ashrrev_i32_e32 v3, 31, v2
	s_add_u32 s2, s10, s2
	v_lshlrev_b64 v[0:1], 4, v[2:3]
	s_addc_u32 s3, s11, s3
	v_mov_b32_e32 v2, s3
	v_add_co_u32_e64 v0, s[2:3], s2, v0
	v_addc_co_u32_e64 v1, s[2:3], v2, v1, s[2:3]
	v_add_co_u32_e64 v6, s[2:3], 8, v0
	s_ashr_i32 s21, s20, 31
	v_addc_co_u32_e64 v7, s[2:3], 0, v1, s[2:3]
	s_lshl_b64 s[10:11], s[20:21], 4
	v_pk_mov_b32 v[0:1], 0, 0
	v_mov_b32_e32 v10, s7
	v_mov_b32_e32 v11, s11
	v_pk_mov_b32 v[2:3], v[0:1], v[0:1] op_sel:[0,1]
.LBB28_3:                               ; =>This Inner Loop Header: Depth=1
	global_load_dwordx4 v[12:15], v[4:5], off offset:-8
	global_load_dwordx4 v[16:19], v[6:7], off offset:-8
	v_add_co_u32_e64 v4, s[2:3], s6, v4
	v_addc_co_u32_e64 v5, s[2:3], v5, v10, s[2:3]
	s_add_i32 s22, s22, -1
	v_add_co_u32_e64 v6, s[2:3], s10, v6
	v_addc_co_u32_e64 v7, s[2:3], v7, v11, s[2:3]
	s_cmp_eq_u32 s22, 0
	s_waitcnt vmcnt(1)
	v_xor_b32_e32 v20, 0x80000000, v15
	s_waitcnt vmcnt(0)
	v_xor_b32_e32 v21, 0x80000000, v19
	v_cndmask_b32_e32 v15, v15, v20, vcc
	v_cndmask_b32_e64 v19, v19, v21, s[0:1]
	v_mul_f64 v[20:21], v[14:15], v[18:19]
	v_mul_f64 v[14:15], v[14:15], v[16:17]
	v_fma_f64 v[16:17], v[12:13], v[16:17], -v[20:21]
	v_fmac_f64_e32 v[14:15], v[12:13], v[18:19]
	v_add_f64 v[2:3], v[2:3], v[16:17]
	v_add_f64 v[0:1], v[0:1], v[14:15]
	s_cbranch_scc0 .LBB28_3
.LBB28_4:
	s_load_dwordx8 s[12:19], s[4:5], 0x70
	s_load_dwordx4 s[0:3], s[4:5], 0x10
	s_nop 0
	s_load_dwordx4 s[4:7], s[4:5], 0x90
	s_waitcnt lgkmcnt(0)
	v_mul_f64 v[10:11], s[2:3], v[0:1]
	s_mul_i32 s7, s8, s7
	s_mul_hi_u32 s10, s8, s6
	s_mul_i32 s9, s9, s6
	s_add_i32 s7, s10, s7
	s_mul_i32 s6, s8, s6
	s_add_i32 s7, s7, s9
	s_lshl_b64 s[6:7], s[6:7], 4
	s_add_u32 s8, s16, s6
	v_mul_lo_u32 v4, v8, s4
	s_addc_u32 s9, s17, s7
	s_lshl_b64 s[6:7], s[18:19], 4
	v_mad_u64_u32 v[4:5], s[4:5], v9, s5, v[4:5]
	s_add_u32 s6, s8, s6
	v_ashrrev_i32_e32 v5, 31, v4
	s_addc_u32 s7, s9, s7
	v_lshlrev_b64 v[4:5], 4, v[4:5]
	v_mov_b32_e32 v6, s7
	v_add_co_u32_e32 v8, vcc, s6, v4
	v_addc_co_u32_e32 v9, vcc, v6, v5, vcc
	global_load_dwordx4 v[4:7], v[8:9], off
	v_mul_f64 v[12:13], s[0:1], v[0:1]
	v_fma_f64 v[0:1], s[0:1], v[2:3], -v[10:11]
	v_fmac_f64_e32 v[12:13], s[2:3], v[2:3]
	s_waitcnt vmcnt(0)
	v_mul_f64 v[2:3], s[14:15], v[6:7]
	v_mul_f64 v[6:7], s[12:13], v[6:7]
	v_fma_f64 v[2:3], s[12:13], v[4:5], -v[2:3]
	v_fmac_f64_e32 v[6:7], s[14:15], v[4:5]
	v_add_f64 v[0:1], v[0:1], v[2:3]
	v_add_f64 v[2:3], v[12:13], v[6:7]
	global_store_dwordx4 v[8:9], v[0:3], off
.LBB28_5:
	s_endpgm
	.section	.rodata,"a",@progbits
	.p2align	6, 0x0
	.amdhsa_kernel _ZN9rocsolver6v33100L11gemm_kernelI19rocblas_complex_numIdEiS3_PS3_PKS4_S4_EEvT0_S7_S7_T1_bT2_lS7_S7_lbT3_lS7_S7_lS8_T4_lS7_S7_l
		.amdhsa_group_segment_fixed_size 0
		.amdhsa_private_segment_fixed_size 0
		.amdhsa_kernarg_size 416
		.amdhsa_user_sgpr_count 6
		.amdhsa_user_sgpr_private_segment_buffer 1
		.amdhsa_user_sgpr_dispatch_ptr 0
		.amdhsa_user_sgpr_queue_ptr 0
		.amdhsa_user_sgpr_kernarg_segment_ptr 1
		.amdhsa_user_sgpr_dispatch_id 0
		.amdhsa_user_sgpr_flat_scratch_init 0
		.amdhsa_user_sgpr_kernarg_preload_length 0
		.amdhsa_user_sgpr_kernarg_preload_offset 0
		.amdhsa_user_sgpr_private_segment_size 0
		.amdhsa_uses_dynamic_stack 0
		.amdhsa_system_sgpr_private_segment_wavefront_offset 0
		.amdhsa_system_sgpr_workgroup_id_x 1
		.amdhsa_system_sgpr_workgroup_id_y 1
		.amdhsa_system_sgpr_workgroup_id_z 1
		.amdhsa_system_sgpr_workgroup_info 0
		.amdhsa_system_vgpr_workitem_id 1
		.amdhsa_next_free_vgpr 22
		.amdhsa_next_free_sgpr 28
		.amdhsa_accum_offset 24
		.amdhsa_reserve_vcc 1
		.amdhsa_reserve_flat_scratch 0
		.amdhsa_float_round_mode_32 0
		.amdhsa_float_round_mode_16_64 0
		.amdhsa_float_denorm_mode_32 3
		.amdhsa_float_denorm_mode_16_64 3
		.amdhsa_dx10_clamp 1
		.amdhsa_ieee_mode 1
		.amdhsa_fp16_overflow 0
		.amdhsa_tg_split 0
		.amdhsa_exception_fp_ieee_invalid_op 0
		.amdhsa_exception_fp_denorm_src 0
		.amdhsa_exception_fp_ieee_div_zero 0
		.amdhsa_exception_fp_ieee_overflow 0
		.amdhsa_exception_fp_ieee_underflow 0
		.amdhsa_exception_fp_ieee_inexact 0
		.amdhsa_exception_int_div_zero 0
	.end_amdhsa_kernel
	.section	.text._ZN9rocsolver6v33100L11gemm_kernelI19rocblas_complex_numIdEiS3_PS3_PKS4_S4_EEvT0_S7_S7_T1_bT2_lS7_S7_lbT3_lS7_S7_lS8_T4_lS7_S7_l,"axG",@progbits,_ZN9rocsolver6v33100L11gemm_kernelI19rocblas_complex_numIdEiS3_PS3_PKS4_S4_EEvT0_S7_S7_T1_bT2_lS7_S7_lbT3_lS7_S7_lS8_T4_lS7_S7_l,comdat
.Lfunc_end28:
	.size	_ZN9rocsolver6v33100L11gemm_kernelI19rocblas_complex_numIdEiS3_PS3_PKS4_S4_EEvT0_S7_S7_T1_bT2_lS7_S7_lbT3_lS7_S7_lS8_T4_lS7_S7_l, .Lfunc_end28-_ZN9rocsolver6v33100L11gemm_kernelI19rocblas_complex_numIdEiS3_PS3_PKS4_S4_EEvT0_S7_S7_T1_bT2_lS7_S7_lbT3_lS7_S7_lS8_T4_lS7_S7_l
                                        ; -- End function
	.section	.AMDGPU.csdata,"",@progbits
; Kernel info:
; codeLenInByte = 772
; NumSgprs: 32
; NumVgprs: 22
; NumAgprs: 0
; TotalNumVgprs: 22
; ScratchSize: 0
; MemoryBound: 0
; FloatMode: 240
; IeeeMode: 1
; LDSByteSize: 0 bytes/workgroup (compile time only)
; SGPRBlocks: 3
; VGPRBlocks: 2
; NumSGPRsForWavesPerEU: 32
; NumVGPRsForWavesPerEU: 22
; AccumOffset: 24
; Occupancy: 8
; WaveLimiterHint : 1
; COMPUTE_PGM_RSRC2:SCRATCH_EN: 0
; COMPUTE_PGM_RSRC2:USER_SGPR: 6
; COMPUTE_PGM_RSRC2:TRAP_HANDLER: 0
; COMPUTE_PGM_RSRC2:TGID_X_EN: 1
; COMPUTE_PGM_RSRC2:TGID_Y_EN: 1
; COMPUTE_PGM_RSRC2:TGID_Z_EN: 1
; COMPUTE_PGM_RSRC2:TIDIG_COMP_CNT: 1
; COMPUTE_PGM_RSRC3_GFX90A:ACCUM_OFFSET: 5
; COMPUTE_PGM_RSRC3_GFX90A:TG_SPLIT: 0
	.section	.text._ZN9rocsolver6v33100L16mfma_gemm_kernelI19rocblas_complex_numIdEiPKS3_PS3_S6_PKS6_EEv18rocblas_operation_S9_T0_SA_SA_T1_T2_lSA_SA_lT3_lSA_SA_lSB_T4_lSA_SA_l,"axG",@progbits,_ZN9rocsolver6v33100L16mfma_gemm_kernelI19rocblas_complex_numIdEiPKS3_PS3_S6_PKS6_EEv18rocblas_operation_S9_T0_SA_SA_T1_T2_lSA_SA_lT3_lSA_SA_lSB_T4_lSA_SA_l,comdat
	.globl	_ZN9rocsolver6v33100L16mfma_gemm_kernelI19rocblas_complex_numIdEiPKS3_PS3_S6_PKS6_EEv18rocblas_operation_S9_T0_SA_SA_T1_T2_lSA_SA_lT3_lSA_SA_lSB_T4_lSA_SA_l ; -- Begin function _ZN9rocsolver6v33100L16mfma_gemm_kernelI19rocblas_complex_numIdEiPKS3_PS3_S6_PKS6_EEv18rocblas_operation_S9_T0_SA_SA_T1_T2_lSA_SA_lT3_lSA_SA_lSB_T4_lSA_SA_l
	.p2align	8
	.type	_ZN9rocsolver6v33100L16mfma_gemm_kernelI19rocblas_complex_numIdEiPKS3_PS3_S6_PKS6_EEv18rocblas_operation_S9_T0_SA_SA_T1_T2_lSA_SA_lT3_lSA_SA_lSB_T4_lSA_SA_l,@function
_ZN9rocsolver6v33100L16mfma_gemm_kernelI19rocblas_complex_numIdEiPKS3_PS3_S6_PKS6_EEv18rocblas_operation_S9_T0_SA_SA_T1_T2_lSA_SA_lT3_lSA_SA_lSB_T4_lSA_SA_l: ; @_ZN9rocsolver6v33100L16mfma_gemm_kernelI19rocblas_complex_numIdEiPKS3_PS3_S6_PKS6_EEv18rocblas_operation_S9_T0_SA_SA_T1_T2_lSA_SA_lT3_lSA_SA_lSB_T4_lSA_SA_l
; %bb.0:
	s_load_dword s0, s[4:5], 0x94
	s_load_dwordx4 s[40:43], s[4:5], 0x0
	v_and_b32_e32 v34, 0x3ff, v0
	v_bfe_u32 v0, v0, 10, 10
	v_lshrrev_b32_e32 v1, 6, v34
	s_waitcnt lgkmcnt(0)
	s_lshr_b32 s1, s0, 16
	s_bfe_u32 s0, s0, 0xa0006
	s_mul_i32 s7, s7, s1
	s_mul_i32 s6, s6, s0
	v_add_u32_e32 v0, s7, v0
	v_add_lshl_u32 v35, s6, v1, 4
	v_lshlrev_b32_e32 v36, 4, v0
	v_cmp_gt_i32_e32 vcc, s42, v35
	v_cmp_gt_i32_e64 s[0:1], s43, v36
	s_and_b64 s[0:1], vcc, s[0:1]
	s_and_saveexec_b64 s[2:3], s[0:1]
	s_cbranch_execz .LBB29_36
; %bb.1:
	s_ashr_i32 s6, s42, 31
	s_lshr_b32 s6, s6, 28
	s_add_i32 s6, s42, s6
	s_and_b32 s6, s6, -16
	s_load_dword s33, s[4:5], 0x10
	s_load_dwordx4 s[0:3], s[4:5], 0x18
	s_load_dwordx8 s[12:19], s[4:5], 0x58
	s_sub_i32 s6, s42, s6
	v_mov_b32_e32 v1, s6
	s_ashr_i32 s6, s43, 31
	s_lshr_b32 s6, s6, 28
	s_add_i32 s6, s43, s6
	s_and_b32 s6, s6, -16
	s_ashr_i32 s9, s8, 31
	s_sub_i32 s6, s43, s6
	s_waitcnt lgkmcnt(0)
	s_load_dwordx4 s[36:39], s[0:1], 0x0
	s_load_dwordx4 s[28:31], s[14:15], 0x0
	s_lshl_b64 s[0:1], s[8:9], 3
	s_add_u32 s0, s16, s0
	s_addc_u32 s1, s17, s1
	v_add_u32_e32 v0, 16, v35
	s_load_dwordx2 s[14:15], s[0:1], 0x0
	v_cmp_lt_i32_e32 vcc, s42, v0
	v_add_u32_e32 v0, 16, v36
	v_cndmask_b32_e32 v32, 16, v1, vcc
	v_mov_b32_e32 v1, s6
	v_cmp_lt_i32_e32 vcc, s43, v0
	v_cndmask_b32_e32 v37, 16, v1, vcc
	v_bfe_u32 v38, v34, 2, 4
	v_pk_mov_b32 v[20:21], 0, 0
	v_and_b32_e32 v33, 3, v34
	s_cmp_lt_i32 s33, 1
	v_cmp_lt_i32_e64 s[0:1], v38, v37
	v_mbcnt_lo_u32_b32 v39, -1, 0
	v_pk_mov_b32 v[22:23], v[20:21], v[20:21] op_sel:[0,1]
	v_pk_mov_b32 v[8:9], v[20:21], v[20:21] op_sel:[0,1]
	;; [unrolled: 1-line block ×7, first 2 shown]
	s_cbranch_scc1 .LBB29_28
; %bb.2:
	s_load_dwordx8 s[20:27], s[4:5], 0x28
	s_load_dwordx4 s[44:47], s[4:5], 0x48
	v_and_b32_e32 v2, 63, v34
	v_lshrrev_b32_e32 v44, 4, v2
	v_pk_mov_b32 v[8:9], 0, 0
	s_waitcnt lgkmcnt(0)
	s_mul_i32 s6, s8, s25
	s_mul_hi_u32 s7, s8, s24
	s_mul_i32 s10, s9, s24
	s_add_i32 s6, s7, s6
	s_add_i32 s7, s6, s10
	s_mul_i32 s6, s8, s24
	s_lshl_b64 s[6:7], s[6:7], 4
	s_add_u32 s6, s2, s6
	s_addc_u32 s7, s3, s7
	s_lshl_b64 s[2:3], s[20:21], 4
	s_add_u32 s6, s6, s2
	s_addc_u32 s7, s7, s3
	s_mul_i32 s2, s8, s13
	s_mul_hi_u32 s3, s8, s12
	s_add_i32 s2, s3, s2
	s_mul_i32 s3, s9, s12
	s_add_i32 s3, s2, s3
	s_mul_i32 s2, s8, s12
	s_lshl_b64 s[2:3], s[2:3], 4
	s_add_u32 s8, s26, s2
	s_addc_u32 s9, s27, s3
	s_lshl_b64 s[2:3], s[44:45], 4
	s_add_u32 s2, s8, s2
	s_addc_u32 s3, s9, s3
	s_cmpk_lg_i32 s40, 0x6f
	s_cselect_b64 s[16:17], -1, 0
	s_cmpk_eq_i32 s40, 0x6f
	s_cselect_b32 s8, s22, s23
	v_mul_lo_u32 v0, v35, s8
	v_ashrrev_i32_e32 v1, 31, v0
	s_cmpk_lg_i32 s41, 0x6f
	v_lshlrev_b64 v[0:1], 4, v[0:1]
	s_cselect_b64 s[20:21], -1, 0
	s_cmpk_eq_i32 s41, 0x6f
	v_add_co_u32_e32 v40, vcc, s6, v0
	s_cselect_b32 s6, s47, s46
	v_mov_b32_e32 v3, s7
	v_mul_lo_u32 v0, v36, s6
	v_addc_co_u32_e32 v41, vcc, v3, v1, vcc
	v_ashrrev_i32_e32 v1, 31, v0
	v_lshlrev_b64 v[0:1], 4, v[0:1]
	v_mov_b32_e32 v3, s3
	v_add_co_u32_e32 v42, vcc, s2, v0
	v_addc_co_u32_e32 v43, vcc, v3, v1, vcc
	v_and_b32_e32 v1, 15, v34
	v_mul_lo_u32 v0, v1, s22
	s_cmpk_eq_i32 s40, 0x71
	v_mad_u64_u32 v[24:25], s[24:25], s23, v44, v[0:1]
	v_mul_lo_u32 v0, s22, v33
	s_cselect_b64 s[10:11], -1, 0
	s_cmpk_eq_i32 s41, 0x71
	v_mad_u64_u32 v[26:27], s[24:25], v38, s23, v[0:1]
	v_mul_lo_u32 v0, s46, v33
	v_lshl_or_b32 v3, v1, 2, v44
	s_cselect_b64 s[12:13], -1, 0
	s_lshl_b32 s34, s23, 2
	s_lshl_b32 s35, s22, 2
	v_mad_u64_u32 v[28:29], s[22:23], v38, s47, v[0:1]
	v_mbcnt_hi_u32_b32 v0, -1, v39
	v_mul_lo_u32 v2, v1, s46
	v_and_or_b32 v0, v0, 64, v3
	v_cmp_lt_i32_e64 s[2:3], v38, v32
	v_cmp_lt_i32_e64 s[6:7], v1, v32
	;; [unrolled: 1-line block ×3, first 2 shown]
	s_lshl_b32 s40, s46, 2
	v_mad_u64_u32 v[30:31], s[22:23], s47, v44, v[2:3]
	s_lshl_b32 s41, s47, 2
	s_mov_b32 s42, 0
	v_lshlrev_b32_e32 v45, 2, v0
	v_pk_mov_b32 v[12:13], v[8:9], v[8:9] op_sel:[0,1]
	v_pk_mov_b32 v[16:17], v[8:9], v[8:9] op_sel:[0,1]
	;; [unrolled: 1-line block ×7, first 2 shown]
	s_branch .LBB29_6
.LBB29_3:                               ;   in Loop: Header=BB29_6 Depth=1
	s_or_b64 exec, exec, s[24:25]
.LBB29_4:                               ;   in Loop: Header=BB29_6 Depth=1
	s_or_b64 exec, exec, s[22:23]
	s_waitcnt vmcnt(0)
	ds_bpermute_b32 v4, v45, v4
	ds_bpermute_b32 v5, v45, v5
	;; [unrolled: 1-line block ×4, first 2 shown]
.LBB29_5:                               ;   in Loop: Header=BB29_6 Depth=1
	s_waitcnt vmcnt(0) lgkmcnt(0)
	v_xor_b32_e32 v25, 0x80000000, v3
	v_cndmask_b32_e64 v3, v3, v25, s[10:11]
	v_cndmask_b32_e64 v2, v2, v2, s[10:11]
	v_xor_b32_e32 v25, 0x80000000, v7
	v_cndmask_b32_e64 v7, v7, v25, s[12:13]
	v_cndmask_b32_e64 v6, v6, v6, s[12:13]
	v_mfma_f64_16x16x4f64 v[46:53], v[0:1], v[4:5], 0
	s_add_i32 s42, s42, 4
	s_cmp_ge_i32 s42, s33
	v_add_u32_e32 v24, s34, v24
	v_add_u32_e32 v26, s35, v26
	;; [unrolled: 1-line block ×4, first 2 shown]
	v_mfma_f64_16x16x4f64 v[54:61], v[2:3], v[6:7], 0
	s_nop 7
	s_nop 2
	v_add_f64 v[60:61], v[52:53], -v[60:61]
	v_add_f64 v[58:59], v[50:51], -v[58:59]
	;; [unrolled: 1-line block ×4, first 2 shown]
	v_add_f64 v[20:21], v[20:21], v[54:55]
	v_add_f64 v[18:19], v[18:19], v[56:57]
	;; [unrolled: 1-line block ×4, first 2 shown]
	v_mfma_f64_16x16x4f64 v[46:53], v[0:1], v[6:7], 0
	v_mfma_f64_16x16x4f64 v[0:7], v[2:3], v[4:5], 0
	s_nop 7
	s_nop 2
	v_add_f64 v[6:7], v[52:53], v[6:7]
	v_add_f64 v[4:5], v[50:51], v[4:5]
	;; [unrolled: 1-line block ×8, first 2 shown]
	s_cbranch_scc1 .LBB29_28
.LBB29_6:                               ; =>This Inner Loop Header: Depth=1
	s_and_b64 vcc, exec, s[16:17]
	s_cbranch_vccz .LBB29_18
; %bb.7:                                ;   in Loop: Header=BB29_6 Depth=1
	v_pk_mov_b32 v[0:1], 0, 0
	s_mov_b64 s[22:23], 0
	v_pk_mov_b32 v[2:3], v[0:1], v[0:1] op_sel:[0,1]
	s_and_saveexec_b64 s[24:25], s[2:3]
	s_cbranch_execz .LBB29_11
; %bb.8:                                ;   in Loop: Header=BB29_6 Depth=1
	v_add_u32_e32 v0, s42, v33
	v_pk_mov_b32 v[2:3], 0, 0
	v_cmp_gt_i32_e32 vcc, s33, v0
	v_pk_mov_b32 v[0:1], v[2:3], v[2:3] op_sel:[0,1]
	s_and_saveexec_b64 s[26:27], vcc
	s_cbranch_execz .LBB29_10
; %bb.9:                                ;   in Loop: Header=BB29_6 Depth=1
	v_ashrrev_i32_e32 v27, 31, v26
	v_lshlrev_b64 v[0:1], 4, v[26:27]
	v_add_co_u32_e32 v0, vcc, v40, v0
	v_addc_co_u32_e32 v1, vcc, v41, v1, vcc
	global_load_dwordx4 v[0:3], v[0:1], off
.LBB29_10:                              ;   in Loop: Header=BB29_6 Depth=1
	s_or_b64 exec, exec, s[26:27]
.LBB29_11:                              ;   in Loop: Header=BB29_6 Depth=1
	s_or_b64 exec, exec, s[24:25]
	s_waitcnt vmcnt(0)
	ds_bpermute_b32 v0, v45, v0
	ds_bpermute_b32 v1, v45, v1
	;; [unrolled: 1-line block ×4, first 2 shown]
	s_and_b64 vcc, exec, s[22:23]
	s_cbranch_vccnz .LBB29_19
.LBB29_12:                              ;   in Loop: Header=BB29_6 Depth=1
	s_and_b64 vcc, exec, s[20:21]
	s_cbranch_vccz .LBB29_24
.LBB29_13:                              ;   in Loop: Header=BB29_6 Depth=1
	v_pk_mov_b32 v[6:7], 0, 0
	s_mov_b64 s[22:23], 0
	v_pk_mov_b32 v[4:5], v[6:7], v[6:7] op_sel:[0,1]
	s_and_saveexec_b64 s[24:25], s[8:9]
	s_cbranch_execz .LBB29_17
; %bb.14:                               ;   in Loop: Header=BB29_6 Depth=1
	v_add_u32_e32 v4, s42, v44
	v_pk_mov_b32 v[6:7], 0, 0
	v_cmp_gt_i32_e32 vcc, s33, v4
	v_pk_mov_b32 v[4:5], v[6:7], v[6:7] op_sel:[0,1]
	s_and_saveexec_b64 s[26:27], vcc
	s_cbranch_execz .LBB29_16
; %bb.15:                               ;   in Loop: Header=BB29_6 Depth=1
	v_ashrrev_i32_e32 v31, 31, v30
	v_lshlrev_b64 v[4:5], 4, v[30:31]
	v_add_co_u32_e32 v4, vcc, v42, v4
	v_addc_co_u32_e32 v5, vcc, v43, v5, vcc
	global_load_dwordx4 v[4:7], v[4:5], off
.LBB29_16:                              ;   in Loop: Header=BB29_6 Depth=1
	s_or_b64 exec, exec, s[26:27]
.LBB29_17:                              ;   in Loop: Header=BB29_6 Depth=1
	s_or_b64 exec, exec, s[24:25]
	s_andn2_b64 vcc, exec, s[22:23]
	s_cbranch_vccnz .LBB29_5
	s_branch .LBB29_25
.LBB29_18:                              ;   in Loop: Header=BB29_6 Depth=1
                                        ; implicit-def: $vgpr2_vgpr3
	s_cbranch_execz .LBB29_12
.LBB29_19:                              ;   in Loop: Header=BB29_6 Depth=1
	s_waitcnt lgkmcnt(0)
	v_pk_mov_b32 v[2:3], 0, 0
	v_pk_mov_b32 v[0:1], v[2:3], v[2:3] op_sel:[0,1]
	s_and_saveexec_b64 s[22:23], s[6:7]
	s_cbranch_execz .LBB29_23
; %bb.20:                               ;   in Loop: Header=BB29_6 Depth=1
	v_add_u32_e32 v0, s42, v44
	v_pk_mov_b32 v[2:3], 0, 0
	v_cmp_gt_i32_e32 vcc, s33, v0
	v_pk_mov_b32 v[0:1], v[2:3], v[2:3] op_sel:[0,1]
	s_and_saveexec_b64 s[24:25], vcc
	s_cbranch_execz .LBB29_22
; %bb.21:                               ;   in Loop: Header=BB29_6 Depth=1
	v_ashrrev_i32_e32 v25, 31, v24
	v_lshlrev_b64 v[0:1], 4, v[24:25]
	v_add_co_u32_e32 v0, vcc, v40, v0
	v_addc_co_u32_e32 v1, vcc, v41, v1, vcc
	global_load_dwordx4 v[0:3], v[0:1], off
.LBB29_22:                              ;   in Loop: Header=BB29_6 Depth=1
	s_or_b64 exec, exec, s[24:25]
.LBB29_23:                              ;   in Loop: Header=BB29_6 Depth=1
	s_or_b64 exec, exec, s[22:23]
	s_and_b64 vcc, exec, s[20:21]
	s_cbranch_vccnz .LBB29_13
.LBB29_24:                              ;   in Loop: Header=BB29_6 Depth=1
                                        ; implicit-def: $vgpr6_vgpr7
.LBB29_25:                              ;   in Loop: Header=BB29_6 Depth=1
	s_waitcnt vmcnt(0)
	v_pk_mov_b32 v[4:5], 0, 0
	v_pk_mov_b32 v[6:7], v[4:5], v[4:5] op_sel:[0,1]
	s_and_saveexec_b64 s[22:23], s[0:1]
	s_cbranch_execz .LBB29_4
; %bb.26:                               ;   in Loop: Header=BB29_6 Depth=1
	v_add_u32_e32 v4, s42, v33
	v_pk_mov_b32 v[6:7], 0, 0
	v_cmp_gt_i32_e32 vcc, s33, v4
	v_pk_mov_b32 v[4:5], v[6:7], v[6:7] op_sel:[0,1]
	s_and_saveexec_b64 s[24:25], vcc
	s_cbranch_execz .LBB29_3
; %bb.27:                               ;   in Loop: Header=BB29_6 Depth=1
	v_ashrrev_i32_e32 v29, 31, v28
	v_lshlrev_b64 v[4:5], 4, v[28:29]
	v_add_co_u32_e32 v4, vcc, v42, v4
	v_addc_co_u32_e32 v5, vcc, v43, v5, vcc
	global_load_dwordx4 v[4:7], v[4:5], off
	s_branch .LBB29_3
.LBB29_28:
	s_load_dwordx2 s[2:3], s[4:5], 0x78
	s_lshl_b64 s[0:1], s[18:19], 4
	s_waitcnt lgkmcnt(0)
	s_add_u32 s4, s14, s0
	s_addc_u32 s5, s15, s1
	v_mul_lo_u32 v0, v35, s2
	v_mad_u64_u32 v[0:1], s[0:1], v36, s3, v[0:1]
	v_ashrrev_i32_e32 v1, 31, v0
	v_lshlrev_b64 v[2:3], 4, v[0:1]
	v_mov_b32_e32 v0, s5
	v_add_co_u32_e32 v1, vcc, s4, v2
	v_addc_co_u32_e32 v6, vcc, v0, v3, vcc
	v_lshlrev_b32_e32 v0, 4, v34
	v_mbcnt_hi_u32_b32 v2, -1, v39
	v_and_b32_e32 v0, 48, v0
	v_and_b32_e32 v2, 64, v2
	v_or3_b32 v0, v0, v2, v38
	v_lshlrev_b32_e32 v7, 2, v0
	ds_bpermute_b32 v2, v7, v20
	ds_bpermute_b32 v3, v7, v21
	;; [unrolled: 1-line block ×4, first 2 shown]
	v_cmp_lt_i32_e32 vcc, v38, v37
	v_cmp_lt_i32_e64 s[0:1], v33, v32
	v_mul_lo_u32 v0, v38, s3
	s_and_b64 s[0:1], vcc, s[0:1]
	s_and_saveexec_b64 s[4:5], s[0:1]
	s_cbranch_execz .LBB29_30
; %bb.29:
	v_mad_u64_u32 v[20:21], s[0:1], v33, s2, v[0:1]
	v_ashrrev_i32_e32 v21, 31, v20
	v_lshlrev_b64 v[20:21], 4, v[20:21]
	v_add_co_u32_e64 v24, s[0:1], v1, v20
	v_addc_co_u32_e64 v25, s[0:1], v6, v21, s[0:1]
	global_load_dwordx4 v[20:23], v[24:25], off
	s_waitcnt lgkmcnt(0)
	v_mul_f64 v[26:27], s[38:39], v[4:5]
	v_mul_f64 v[4:5], s[36:37], v[4:5]
	v_fma_f64 v[26:27], s[36:37], v[2:3], -v[26:27]
	v_fmac_f64_e32 v[4:5], s[38:39], v[2:3]
	s_waitcnt vmcnt(0)
	v_mul_f64 v[2:3], s[30:31], v[22:23]
	v_mul_f64 v[22:23], s[28:29], v[22:23]
	v_fma_f64 v[2:3], s[28:29], v[20:21], -v[2:3]
	v_fmac_f64_e32 v[22:23], s[30:31], v[20:21]
	v_add_f64 v[2:3], v[26:27], v[2:3]
	v_add_f64 v[4:5], v[4:5], v[22:23]
	global_store_dwordx4 v[24:25], v[2:5], off
.LBB29_30:
	s_or_b64 exec, exec, s[4:5]
	s_waitcnt lgkmcnt(3)
	ds_bpermute_b32 v2, v7, v18
	s_waitcnt lgkmcnt(3)
	ds_bpermute_b32 v3, v7, v19
	s_waitcnt lgkmcnt(3)
	ds_bpermute_b32 v4, v7, v16
	s_waitcnt lgkmcnt(3)
	ds_bpermute_b32 v5, v7, v17
	v_or_b32_e32 v16, 4, v33
	v_cmp_lt_i32_e64 s[0:1], v16, v32
	s_and_b64 s[0:1], vcc, s[0:1]
	s_and_saveexec_b64 s[4:5], s[0:1]
	s_cbranch_execz .LBB29_32
; %bb.31:
	v_mad_u64_u32 v[16:17], s[0:1], v16, s2, v[0:1]
	v_ashrrev_i32_e32 v17, 31, v16
	v_lshlrev_b64 v[16:17], 4, v[16:17]
	v_add_co_u32_e64 v20, s[0:1], v1, v16
	v_addc_co_u32_e64 v21, s[0:1], v6, v17, s[0:1]
	global_load_dwordx4 v[16:19], v[20:21], off
	s_waitcnt lgkmcnt(0)
	v_mul_f64 v[22:23], s[38:39], v[4:5]
	v_mul_f64 v[4:5], s[36:37], v[4:5]
	v_fma_f64 v[22:23], s[36:37], v[2:3], -v[22:23]
	v_fmac_f64_e32 v[4:5], s[38:39], v[2:3]
	s_waitcnt vmcnt(0)
	v_mul_f64 v[2:3], s[30:31], v[18:19]
	v_mul_f64 v[18:19], s[28:29], v[18:19]
	v_fma_f64 v[2:3], s[28:29], v[16:17], -v[2:3]
	v_fmac_f64_e32 v[18:19], s[30:31], v[16:17]
	v_add_f64 v[2:3], v[22:23], v[2:3]
	v_add_f64 v[4:5], v[4:5], v[18:19]
	global_store_dwordx4 v[20:21], v[2:5], off
.LBB29_32:
	s_or_b64 exec, exec, s[4:5]
	s_waitcnt lgkmcnt(3)
	ds_bpermute_b32 v2, v7, v14
	s_waitcnt lgkmcnt(3)
	ds_bpermute_b32 v3, v7, v15
	s_waitcnt lgkmcnt(3)
	ds_bpermute_b32 v4, v7, v12
	s_waitcnt lgkmcnt(3)
	ds_bpermute_b32 v5, v7, v13
	v_or_b32_e32 v12, 8, v33
	v_cmp_lt_i32_e64 s[0:1], v12, v32
	;; [unrolled: 35-line block ×3, first 2 shown]
	s_and_b64 s[0:1], vcc, s[0:1]
	s_and_b64 exec, exec, s[0:1]
	s_cbranch_execz .LBB29_36
; %bb.35:
	v_mad_u64_u32 v[8:9], s[0:1], v7, s2, v[0:1]
	v_ashrrev_i32_e32 v9, 31, v8
	v_lshlrev_b64 v[8:9], 4, v[8:9]
	v_add_co_u32_e32 v10, vcc, v1, v8
	v_addc_co_u32_e32 v11, vcc, v6, v9, vcc
	global_load_dwordx4 v[6:9], v[10:11], off
	s_waitcnt lgkmcnt(0)
	v_mul_f64 v[0:1], s[38:39], v[4:5]
	v_mul_f64 v[4:5], s[36:37], v[4:5]
	v_fma_f64 v[0:1], s[36:37], v[2:3], -v[0:1]
	v_fmac_f64_e32 v[4:5], s[38:39], v[2:3]
	s_waitcnt vmcnt(0)
	v_mul_f64 v[2:3], s[30:31], v[8:9]
	v_mul_f64 v[8:9], s[28:29], v[8:9]
	v_fma_f64 v[2:3], s[28:29], v[6:7], -v[2:3]
	v_fmac_f64_e32 v[8:9], s[30:31], v[6:7]
	v_add_f64 v[0:1], v[0:1], v[2:3]
	v_add_f64 v[2:3], v[4:5], v[8:9]
	global_store_dwordx4 v[10:11], v[0:3], off
.LBB29_36:
	s_endpgm
	.section	.rodata,"a",@progbits
	.p2align	6, 0x0
	.amdhsa_kernel _ZN9rocsolver6v33100L16mfma_gemm_kernelI19rocblas_complex_numIdEiPKS3_PS3_S6_PKS6_EEv18rocblas_operation_S9_T0_SA_SA_T1_T2_lSA_SA_lT3_lSA_SA_lSB_T4_lSA_SA_l
		.amdhsa_group_segment_fixed_size 0
		.amdhsa_private_segment_fixed_size 0
		.amdhsa_kernarg_size 392
		.amdhsa_user_sgpr_count 6
		.amdhsa_user_sgpr_private_segment_buffer 1
		.amdhsa_user_sgpr_dispatch_ptr 0
		.amdhsa_user_sgpr_queue_ptr 0
		.amdhsa_user_sgpr_kernarg_segment_ptr 1
		.amdhsa_user_sgpr_dispatch_id 0
		.amdhsa_user_sgpr_flat_scratch_init 0
		.amdhsa_user_sgpr_kernarg_preload_length 0
		.amdhsa_user_sgpr_kernarg_preload_offset 0
		.amdhsa_user_sgpr_private_segment_size 0
		.amdhsa_uses_dynamic_stack 0
		.amdhsa_system_sgpr_private_segment_wavefront_offset 0
		.amdhsa_system_sgpr_workgroup_id_x 1
		.amdhsa_system_sgpr_workgroup_id_y 1
		.amdhsa_system_sgpr_workgroup_id_z 1
		.amdhsa_system_sgpr_workgroup_info 0
		.amdhsa_system_vgpr_workitem_id 1
		.amdhsa_next_free_vgpr 62
		.amdhsa_next_free_sgpr 48
		.amdhsa_accum_offset 64
		.amdhsa_reserve_vcc 1
		.amdhsa_reserve_flat_scratch 0
		.amdhsa_float_round_mode_32 0
		.amdhsa_float_round_mode_16_64 0
		.amdhsa_float_denorm_mode_32 3
		.amdhsa_float_denorm_mode_16_64 3
		.amdhsa_dx10_clamp 1
		.amdhsa_ieee_mode 1
		.amdhsa_fp16_overflow 0
		.amdhsa_tg_split 0
		.amdhsa_exception_fp_ieee_invalid_op 0
		.amdhsa_exception_fp_denorm_src 0
		.amdhsa_exception_fp_ieee_div_zero 0
		.amdhsa_exception_fp_ieee_overflow 0
		.amdhsa_exception_fp_ieee_underflow 0
		.amdhsa_exception_fp_ieee_inexact 0
		.amdhsa_exception_int_div_zero 0
	.end_amdhsa_kernel
	.section	.text._ZN9rocsolver6v33100L16mfma_gemm_kernelI19rocblas_complex_numIdEiPKS3_PS3_S6_PKS6_EEv18rocblas_operation_S9_T0_SA_SA_T1_T2_lSA_SA_lT3_lSA_SA_lSB_T4_lSA_SA_l,"axG",@progbits,_ZN9rocsolver6v33100L16mfma_gemm_kernelI19rocblas_complex_numIdEiPKS3_PS3_S6_PKS6_EEv18rocblas_operation_S9_T0_SA_SA_T1_T2_lSA_SA_lT3_lSA_SA_lSB_T4_lSA_SA_l,comdat
.Lfunc_end29:
	.size	_ZN9rocsolver6v33100L16mfma_gemm_kernelI19rocblas_complex_numIdEiPKS3_PS3_S6_PKS6_EEv18rocblas_operation_S9_T0_SA_SA_T1_T2_lSA_SA_lT3_lSA_SA_lSB_T4_lSA_SA_l, .Lfunc_end29-_ZN9rocsolver6v33100L16mfma_gemm_kernelI19rocblas_complex_numIdEiPKS3_PS3_S6_PKS6_EEv18rocblas_operation_S9_T0_SA_SA_T1_T2_lSA_SA_lT3_lSA_SA_lSB_T4_lSA_SA_l
                                        ; -- End function
	.section	.AMDGPU.csdata,"",@progbits
; Kernel info:
; codeLenInByte = 2460
; NumSgprs: 52
; NumVgprs: 62
; NumAgprs: 0
; TotalNumVgprs: 62
; ScratchSize: 0
; MemoryBound: 1
; FloatMode: 240
; IeeeMode: 1
; LDSByteSize: 0 bytes/workgroup (compile time only)
; SGPRBlocks: 6
; VGPRBlocks: 7
; NumSGPRsForWavesPerEU: 52
; NumVGPRsForWavesPerEU: 62
; AccumOffset: 64
; Occupancy: 8
; WaveLimiterHint : 1
; COMPUTE_PGM_RSRC2:SCRATCH_EN: 0
; COMPUTE_PGM_RSRC2:USER_SGPR: 6
; COMPUTE_PGM_RSRC2:TRAP_HANDLER: 0
; COMPUTE_PGM_RSRC2:TGID_X_EN: 1
; COMPUTE_PGM_RSRC2:TGID_Y_EN: 1
; COMPUTE_PGM_RSRC2:TGID_Z_EN: 1
; COMPUTE_PGM_RSRC2:TIDIG_COMP_CNT: 1
; COMPUTE_PGM_RSRC3_GFX90A:ACCUM_OFFSET: 15
; COMPUTE_PGM_RSRC3_GFX90A:TG_SPLIT: 0
	.section	.text._ZN9rocsolver6v33100L16mfma_gemm_kernelI19rocblas_complex_numIdEiS3_PS3_S4_PKS4_EEv18rocblas_operation_S7_T0_S8_S8_T1_T2_lS8_S8_lT3_lS8_S8_lS9_T4_lS8_S8_l,"axG",@progbits,_ZN9rocsolver6v33100L16mfma_gemm_kernelI19rocblas_complex_numIdEiS3_PS3_S4_PKS4_EEv18rocblas_operation_S7_T0_S8_S8_T1_T2_lS8_S8_lT3_lS8_S8_lS9_T4_lS8_S8_l,comdat
	.globl	_ZN9rocsolver6v33100L16mfma_gemm_kernelI19rocblas_complex_numIdEiS3_PS3_S4_PKS4_EEv18rocblas_operation_S7_T0_S8_S8_T1_T2_lS8_S8_lT3_lS8_S8_lS9_T4_lS8_S8_l ; -- Begin function _ZN9rocsolver6v33100L16mfma_gemm_kernelI19rocblas_complex_numIdEiS3_PS3_S4_PKS4_EEv18rocblas_operation_S7_T0_S8_S8_T1_T2_lS8_S8_lT3_lS8_S8_lS9_T4_lS8_S8_l
	.p2align	8
	.type	_ZN9rocsolver6v33100L16mfma_gemm_kernelI19rocblas_complex_numIdEiS3_PS3_S4_PKS4_EEv18rocblas_operation_S7_T0_S8_S8_T1_T2_lS8_S8_lT3_lS8_S8_lS9_T4_lS8_S8_l,@function
_ZN9rocsolver6v33100L16mfma_gemm_kernelI19rocblas_complex_numIdEiS3_PS3_S4_PKS4_EEv18rocblas_operation_S7_T0_S8_S8_T1_T2_lS8_S8_lT3_lS8_S8_lS9_T4_lS8_S8_l: ; @_ZN9rocsolver6v33100L16mfma_gemm_kernelI19rocblas_complex_numIdEiS3_PS3_S4_PKS4_EEv18rocblas_operation_S7_T0_S8_S8_T1_T2_lS8_S8_lT3_lS8_S8_lS9_T4_lS8_S8_l
; %bb.0:
	s_load_dword s0, s[4:5], 0xa4
	s_load_dwordx4 s[28:31], s[4:5], 0x0
	v_and_b32_e32 v34, 0x3ff, v0
	v_bfe_u32 v0, v0, 10, 10
	v_lshrrev_b32_e32 v1, 6, v34
	s_waitcnt lgkmcnt(0)
	s_lshr_b32 s1, s0, 16
	s_bfe_u32 s0, s0, 0xa0006
	s_mul_i32 s7, s7, s1
	s_mul_i32 s6, s6, s0
	v_add_u32_e32 v0, s7, v0
	v_add_lshl_u32 v36, s6, v1, 4
	v_lshlrev_b32_e32 v37, 4, v0
	v_cmp_gt_i32_e32 vcc, s30, v36
	v_cmp_gt_i32_e64 s[0:1], s31, v37
	s_and_b64 s[0:1], vcc, s[0:1]
	s_and_saveexec_b64 s[2:3], s[0:1]
	s_cbranch_execz .LBB30_36
; %bb.1:
	s_ashr_i32 s0, s30, 31
	s_lshr_b32 s0, s0, 28
	s_add_i32 s0, s30, s0
	s_and_b32 s0, s0, -16
	s_sub_i32 s0, s30, s0
	v_mov_b32_e32 v1, s0
	s_ashr_i32 s0, s31, 31
	s_load_dword s33, s[4:5], 0x10
	s_load_dwordx8 s[20:27], s[4:5], 0x18
	s_load_dwordx2 s[34:35], s[4:5], 0x80
	s_load_dwordx8 s[12:19], s[4:5], 0x60
	s_lshr_b32 s0, s0, 28
	s_add_i32 s0, s31, s0
	v_add_u32_e32 v0, 16, v36
	s_and_b32 s0, s0, -16
	v_cmp_lt_i32_e32 vcc, s30, v0
	s_sub_i32 s0, s31, s0
	s_ashr_i32 s9, s8, 31
	v_cndmask_b32_e32 v32, 16, v1, vcc
	v_mov_b32_e32 v1, s0
	s_lshl_b64 s[0:1], s[8:9], 3
	s_waitcnt lgkmcnt(0)
	s_add_u32 s0, s18, s0
	s_addc_u32 s1, s19, s1
	s_load_dwordx2 s[18:19], s[0:1], 0x0
	v_add_u32_e32 v0, 16, v37
	v_cmp_lt_i32_e32 vcc, s31, v0
	v_cndmask_b32_e32 v35, 16, v1, vcc
	v_bfe_u32 v38, v34, 2, 4
	v_pk_mov_b32 v[20:21], 0, 0
	v_and_b32_e32 v33, 3, v34
	s_cmp_lt_i32 s33, 1
	v_cmp_lt_i32_e64 s[0:1], v38, v35
	v_mbcnt_lo_u32_b32 v39, -1, 0
	v_pk_mov_b32 v[22:23], v[20:21], v[20:21] op_sel:[0,1]
	v_pk_mov_b32 v[8:9], v[20:21], v[20:21] op_sel:[0,1]
	;; [unrolled: 1-line block ×7, first 2 shown]
	s_cbranch_scc1 .LBB30_28
; %bb.2:
	s_load_dwordx8 s[36:43], s[4:5], 0x40
	s_load_dwordx2 s[30:31], s[4:5], 0x38
	v_and_b32_e32 v2, 63, v34
	v_lshrrev_b32_e32 v44, 4, v2
	v_pk_mov_b32 v[8:9], 0, 0
	s_waitcnt lgkmcnt(0)
	s_mul_i32 s2, s8, s37
	s_mul_hi_u32 s3, s8, s36
	s_mul_i32 s6, s9, s36
	s_add_i32 s2, s3, s2
	s_add_i32 s3, s2, s6
	s_mul_i32 s2, s8, s36
	s_lshl_b64 s[2:3], s[2:3], 4
	s_add_u32 s6, s24, s2
	s_addc_u32 s7, s25, s3
	s_lshl_b64 s[2:3], s[26:27], 4
	s_add_u32 s6, s6, s2
	s_addc_u32 s7, s7, s3
	s_mul_i32 s2, s8, s13
	s_mul_hi_u32 s3, s8, s12
	s_add_i32 s2, s3, s2
	s_mul_i32 s3, s9, s12
	s_add_i32 s3, s2, s3
	s_mul_i32 s2, s8, s12
	s_lshl_b64 s[2:3], s[2:3], 4
	s_add_u32 s8, s38, s2
	s_addc_u32 s9, s39, s3
	s_lshl_b64 s[2:3], s[40:41], 4
	s_add_u32 s2, s8, s2
	s_addc_u32 s3, s9, s3
	s_cmpk_lg_i32 s28, 0x6f
	s_cselect_b64 s[24:25], -1, 0
	s_cmpk_eq_i32 s28, 0x6f
	s_cselect_b32 s8, s30, s31
	v_mul_lo_u32 v0, v36, s8
	v_ashrrev_i32_e32 v1, 31, v0
	s_cmpk_lg_i32 s29, 0x6f
	v_lshlrev_b64 v[0:1], 4, v[0:1]
	s_cselect_b64 s[26:27], -1, 0
	s_cmpk_eq_i32 s29, 0x6f
	v_add_co_u32_e32 v40, vcc, s6, v0
	s_cselect_b32 s6, s43, s42
	v_mov_b32_e32 v3, s7
	v_mul_lo_u32 v0, v37, s6
	v_addc_co_u32_e32 v41, vcc, v3, v1, vcc
	v_ashrrev_i32_e32 v1, 31, v0
	v_lshlrev_b64 v[0:1], 4, v[0:1]
	v_mov_b32_e32 v3, s3
	v_add_co_u32_e32 v42, vcc, s2, v0
	v_addc_co_u32_e32 v43, vcc, v3, v1, vcc
	v_and_b32_e32 v1, 15, v34
	v_mul_lo_u32 v0, v1, s30
	s_cmpk_eq_i32 s28, 0x71
	s_cselect_b64 s[10:11], -1, 0
	s_cmpk_eq_i32 s29, 0x71
	v_mad_u64_u32 v[24:25], s[28:29], s31, v44, v[0:1]
	v_mul_lo_u32 v0, s30, v33
	v_mad_u64_u32 v[26:27], s[28:29], v38, s31, v[0:1]
	v_mul_lo_u32 v0, s42, v33
	v_lshl_or_b32 v3, v1, 2, v44
	v_mad_u64_u32 v[28:29], s[28:29], v38, s43, v[0:1]
	v_mbcnt_hi_u32_b32 v0, -1, v39
	v_mul_lo_u32 v2, v1, s42
	v_and_or_b32 v0, v0, 64, v3
	v_cmp_lt_i32_e64 s[2:3], v38, v32
	v_cmp_lt_i32_e64 s[6:7], v1, v32
	;; [unrolled: 1-line block ×3, first 2 shown]
	s_cselect_b64 s[12:13], -1, 0
	s_lshl_b32 s38, s31, 2
	s_lshl_b32 s39, s30, 2
	;; [unrolled: 1-line block ×3, first 2 shown]
	v_mad_u64_u32 v[30:31], s[28:29], s43, v44, v[2:3]
	s_lshl_b32 s41, s43, 2
	s_mov_b32 s42, 0
	v_lshlrev_b32_e32 v45, 2, v0
	v_pk_mov_b32 v[12:13], v[8:9], v[8:9] op_sel:[0,1]
	v_pk_mov_b32 v[16:17], v[8:9], v[8:9] op_sel:[0,1]
	;; [unrolled: 1-line block ×7, first 2 shown]
	s_branch .LBB30_6
.LBB30_3:                               ;   in Loop: Header=BB30_6 Depth=1
	s_or_b64 exec, exec, s[30:31]
.LBB30_4:                               ;   in Loop: Header=BB30_6 Depth=1
	s_or_b64 exec, exec, s[28:29]
	s_waitcnt vmcnt(0)
	ds_bpermute_b32 v4, v45, v4
	ds_bpermute_b32 v5, v45, v5
	;; [unrolled: 1-line block ×4, first 2 shown]
.LBB30_5:                               ;   in Loop: Header=BB30_6 Depth=1
	s_waitcnt vmcnt(0) lgkmcnt(0)
	v_xor_b32_e32 v25, 0x80000000, v3
	v_cndmask_b32_e64 v3, v3, v25, s[10:11]
	v_cndmask_b32_e64 v2, v2, v2, s[10:11]
	v_xor_b32_e32 v25, 0x80000000, v7
	v_cndmask_b32_e64 v7, v7, v25, s[12:13]
	v_cndmask_b32_e64 v6, v6, v6, s[12:13]
	v_mfma_f64_16x16x4f64 v[46:53], v[0:1], v[4:5], 0
	s_add_i32 s42, s42, 4
	s_cmp_ge_i32 s42, s33
	v_add_u32_e32 v24, s38, v24
	v_add_u32_e32 v26, s39, v26
	;; [unrolled: 1-line block ×4, first 2 shown]
	v_mfma_f64_16x16x4f64 v[54:61], v[2:3], v[6:7], 0
	s_nop 7
	s_nop 2
	v_add_f64 v[60:61], v[52:53], -v[60:61]
	v_add_f64 v[58:59], v[50:51], -v[58:59]
	;; [unrolled: 1-line block ×4, first 2 shown]
	v_add_f64 v[20:21], v[20:21], v[54:55]
	v_add_f64 v[18:19], v[18:19], v[56:57]
	;; [unrolled: 1-line block ×4, first 2 shown]
	v_mfma_f64_16x16x4f64 v[46:53], v[0:1], v[6:7], 0
	v_mfma_f64_16x16x4f64 v[0:7], v[2:3], v[4:5], 0
	s_nop 7
	s_nop 2
	v_add_f64 v[6:7], v[52:53], v[6:7]
	v_add_f64 v[4:5], v[50:51], v[4:5]
	;; [unrolled: 1-line block ×8, first 2 shown]
	s_cbranch_scc1 .LBB30_28
.LBB30_6:                               ; =>This Inner Loop Header: Depth=1
	s_and_b64 vcc, exec, s[24:25]
	s_cbranch_vccz .LBB30_18
; %bb.7:                                ;   in Loop: Header=BB30_6 Depth=1
	v_pk_mov_b32 v[0:1], 0, 0
	s_mov_b64 s[28:29], 0
	v_pk_mov_b32 v[2:3], v[0:1], v[0:1] op_sel:[0,1]
	s_and_saveexec_b64 s[30:31], s[2:3]
	s_cbranch_execz .LBB30_11
; %bb.8:                                ;   in Loop: Header=BB30_6 Depth=1
	v_add_u32_e32 v0, s42, v33
	v_pk_mov_b32 v[2:3], 0, 0
	v_cmp_gt_i32_e32 vcc, s33, v0
	v_pk_mov_b32 v[0:1], v[2:3], v[2:3] op_sel:[0,1]
	s_and_saveexec_b64 s[36:37], vcc
	s_cbranch_execz .LBB30_10
; %bb.9:                                ;   in Loop: Header=BB30_6 Depth=1
	v_ashrrev_i32_e32 v27, 31, v26
	v_lshlrev_b64 v[0:1], 4, v[26:27]
	v_add_co_u32_e32 v0, vcc, v40, v0
	v_addc_co_u32_e32 v1, vcc, v41, v1, vcc
	global_load_dwordx4 v[0:3], v[0:1], off
.LBB30_10:                              ;   in Loop: Header=BB30_6 Depth=1
	s_or_b64 exec, exec, s[36:37]
.LBB30_11:                              ;   in Loop: Header=BB30_6 Depth=1
	s_or_b64 exec, exec, s[30:31]
	s_waitcnt vmcnt(0)
	ds_bpermute_b32 v0, v45, v0
	ds_bpermute_b32 v1, v45, v1
	ds_bpermute_b32 v2, v45, v2
	ds_bpermute_b32 v3, v45, v3
	s_and_b64 vcc, exec, s[28:29]
	s_cbranch_vccnz .LBB30_19
.LBB30_12:                              ;   in Loop: Header=BB30_6 Depth=1
	s_and_b64 vcc, exec, s[26:27]
	s_cbranch_vccz .LBB30_24
.LBB30_13:                              ;   in Loop: Header=BB30_6 Depth=1
	v_pk_mov_b32 v[6:7], 0, 0
	s_mov_b64 s[28:29], 0
	v_pk_mov_b32 v[4:5], v[6:7], v[6:7] op_sel:[0,1]
	s_and_saveexec_b64 s[30:31], s[8:9]
	s_cbranch_execz .LBB30_17
; %bb.14:                               ;   in Loop: Header=BB30_6 Depth=1
	v_add_u32_e32 v4, s42, v44
	v_pk_mov_b32 v[6:7], 0, 0
	v_cmp_gt_i32_e32 vcc, s33, v4
	v_pk_mov_b32 v[4:5], v[6:7], v[6:7] op_sel:[0,1]
	s_and_saveexec_b64 s[36:37], vcc
	s_cbranch_execz .LBB30_16
; %bb.15:                               ;   in Loop: Header=BB30_6 Depth=1
	v_ashrrev_i32_e32 v31, 31, v30
	v_lshlrev_b64 v[4:5], 4, v[30:31]
	v_add_co_u32_e32 v4, vcc, v42, v4
	v_addc_co_u32_e32 v5, vcc, v43, v5, vcc
	global_load_dwordx4 v[4:7], v[4:5], off
.LBB30_16:                              ;   in Loop: Header=BB30_6 Depth=1
	s_or_b64 exec, exec, s[36:37]
.LBB30_17:                              ;   in Loop: Header=BB30_6 Depth=1
	s_or_b64 exec, exec, s[30:31]
	s_andn2_b64 vcc, exec, s[28:29]
	s_cbranch_vccnz .LBB30_5
	s_branch .LBB30_25
.LBB30_18:                              ;   in Loop: Header=BB30_6 Depth=1
                                        ; implicit-def: $vgpr2_vgpr3
	s_cbranch_execz .LBB30_12
.LBB30_19:                              ;   in Loop: Header=BB30_6 Depth=1
	s_waitcnt lgkmcnt(0)
	v_pk_mov_b32 v[2:3], 0, 0
	v_pk_mov_b32 v[0:1], v[2:3], v[2:3] op_sel:[0,1]
	s_and_saveexec_b64 s[28:29], s[6:7]
	s_cbranch_execz .LBB30_23
; %bb.20:                               ;   in Loop: Header=BB30_6 Depth=1
	v_add_u32_e32 v0, s42, v44
	v_pk_mov_b32 v[2:3], 0, 0
	v_cmp_gt_i32_e32 vcc, s33, v0
	v_pk_mov_b32 v[0:1], v[2:3], v[2:3] op_sel:[0,1]
	s_and_saveexec_b64 s[30:31], vcc
	s_cbranch_execz .LBB30_22
; %bb.21:                               ;   in Loop: Header=BB30_6 Depth=1
	v_ashrrev_i32_e32 v25, 31, v24
	v_lshlrev_b64 v[0:1], 4, v[24:25]
	v_add_co_u32_e32 v0, vcc, v40, v0
	v_addc_co_u32_e32 v1, vcc, v41, v1, vcc
	global_load_dwordx4 v[0:3], v[0:1], off
.LBB30_22:                              ;   in Loop: Header=BB30_6 Depth=1
	s_or_b64 exec, exec, s[30:31]
.LBB30_23:                              ;   in Loop: Header=BB30_6 Depth=1
	s_or_b64 exec, exec, s[28:29]
	s_and_b64 vcc, exec, s[26:27]
	s_cbranch_vccnz .LBB30_13
.LBB30_24:                              ;   in Loop: Header=BB30_6 Depth=1
                                        ; implicit-def: $vgpr6_vgpr7
.LBB30_25:                              ;   in Loop: Header=BB30_6 Depth=1
	s_waitcnt vmcnt(0)
	v_pk_mov_b32 v[4:5], 0, 0
	v_pk_mov_b32 v[6:7], v[4:5], v[4:5] op_sel:[0,1]
	s_and_saveexec_b64 s[28:29], s[0:1]
	s_cbranch_execz .LBB30_4
; %bb.26:                               ;   in Loop: Header=BB30_6 Depth=1
	v_add_u32_e32 v4, s42, v33
	v_pk_mov_b32 v[6:7], 0, 0
	v_cmp_gt_i32_e32 vcc, s33, v4
	v_pk_mov_b32 v[4:5], v[6:7], v[6:7] op_sel:[0,1]
	s_and_saveexec_b64 s[30:31], vcc
	s_cbranch_execz .LBB30_3
; %bb.27:                               ;   in Loop: Header=BB30_6 Depth=1
	v_ashrrev_i32_e32 v29, 31, v28
	v_lshlrev_b64 v[4:5], 4, v[28:29]
	v_add_co_u32_e32 v4, vcc, v42, v4
	v_addc_co_u32_e32 v5, vcc, v43, v5, vcc
	global_load_dwordx4 v[4:7], v[4:5], off
	s_branch .LBB30_3
.LBB30_28:
	s_load_dwordx2 s[2:3], s[4:5], 0x88
	s_lshl_b64 s[0:1], s[34:35], 4
	s_waitcnt lgkmcnt(0)
	s_add_u32 s4, s18, s0
	s_addc_u32 s5, s19, s1
	v_mul_lo_u32 v0, v36, s2
	v_mad_u64_u32 v[0:1], s[0:1], v37, s3, v[0:1]
	v_ashrrev_i32_e32 v1, 31, v0
	v_lshlrev_b64 v[2:3], 4, v[0:1]
	v_mov_b32_e32 v0, s5
	v_add_co_u32_e32 v1, vcc, s4, v2
	v_addc_co_u32_e32 v6, vcc, v0, v3, vcc
	v_lshlrev_b32_e32 v0, 4, v34
	v_mbcnt_hi_u32_b32 v2, -1, v39
	v_and_b32_e32 v0, 48, v0
	v_and_b32_e32 v2, 64, v2
	v_or3_b32 v0, v0, v2, v38
	v_lshlrev_b32_e32 v7, 2, v0
	ds_bpermute_b32 v2, v7, v20
	ds_bpermute_b32 v3, v7, v21
	;; [unrolled: 1-line block ×4, first 2 shown]
	v_cmp_lt_i32_e32 vcc, v38, v35
	v_cmp_lt_i32_e64 s[0:1], v33, v32
	v_mul_lo_u32 v0, v38, s3
	s_and_b64 s[0:1], vcc, s[0:1]
	s_and_saveexec_b64 s[4:5], s[0:1]
	s_cbranch_execz .LBB30_30
; %bb.29:
	v_mad_u64_u32 v[20:21], s[0:1], v33, s2, v[0:1]
	v_ashrrev_i32_e32 v21, 31, v20
	v_lshlrev_b64 v[20:21], 4, v[20:21]
	v_add_co_u32_e64 v24, s[0:1], v1, v20
	v_addc_co_u32_e64 v25, s[0:1], v6, v21, s[0:1]
	global_load_dwordx4 v[20:23], v[24:25], off
	s_waitcnt lgkmcnt(0)
	v_mul_f64 v[26:27], s[22:23], v[4:5]
	v_mul_f64 v[4:5], s[20:21], v[4:5]
	v_fma_f64 v[26:27], s[20:21], v[2:3], -v[26:27]
	v_fmac_f64_e32 v[4:5], s[22:23], v[2:3]
	s_waitcnt vmcnt(0)
	v_mul_f64 v[2:3], s[16:17], v[22:23]
	v_mul_f64 v[22:23], s[14:15], v[22:23]
	v_fma_f64 v[2:3], s[14:15], v[20:21], -v[2:3]
	v_fmac_f64_e32 v[22:23], s[16:17], v[20:21]
	v_add_f64 v[2:3], v[26:27], v[2:3]
	v_add_f64 v[4:5], v[4:5], v[22:23]
	global_store_dwordx4 v[24:25], v[2:5], off
.LBB30_30:
	s_or_b64 exec, exec, s[4:5]
	s_waitcnt lgkmcnt(3)
	ds_bpermute_b32 v2, v7, v18
	s_waitcnt lgkmcnt(3)
	ds_bpermute_b32 v3, v7, v19
	s_waitcnt lgkmcnt(3)
	ds_bpermute_b32 v4, v7, v16
	s_waitcnt lgkmcnt(3)
	ds_bpermute_b32 v5, v7, v17
	v_or_b32_e32 v16, 4, v33
	v_cmp_lt_i32_e64 s[0:1], v16, v32
	s_and_b64 s[0:1], vcc, s[0:1]
	s_and_saveexec_b64 s[4:5], s[0:1]
	s_cbranch_execz .LBB30_32
; %bb.31:
	v_mad_u64_u32 v[16:17], s[0:1], v16, s2, v[0:1]
	v_ashrrev_i32_e32 v17, 31, v16
	v_lshlrev_b64 v[16:17], 4, v[16:17]
	v_add_co_u32_e64 v20, s[0:1], v1, v16
	v_addc_co_u32_e64 v21, s[0:1], v6, v17, s[0:1]
	global_load_dwordx4 v[16:19], v[20:21], off
	s_waitcnt lgkmcnt(0)
	v_mul_f64 v[22:23], s[22:23], v[4:5]
	v_mul_f64 v[4:5], s[20:21], v[4:5]
	v_fma_f64 v[22:23], s[20:21], v[2:3], -v[22:23]
	v_fmac_f64_e32 v[4:5], s[22:23], v[2:3]
	s_waitcnt vmcnt(0)
	v_mul_f64 v[2:3], s[16:17], v[18:19]
	v_mul_f64 v[18:19], s[14:15], v[18:19]
	v_fma_f64 v[2:3], s[14:15], v[16:17], -v[2:3]
	v_fmac_f64_e32 v[18:19], s[16:17], v[16:17]
	v_add_f64 v[2:3], v[22:23], v[2:3]
	v_add_f64 v[4:5], v[4:5], v[18:19]
	global_store_dwordx4 v[20:21], v[2:5], off
.LBB30_32:
	s_or_b64 exec, exec, s[4:5]
	s_waitcnt lgkmcnt(3)
	ds_bpermute_b32 v2, v7, v14
	s_waitcnt lgkmcnt(3)
	ds_bpermute_b32 v3, v7, v15
	s_waitcnt lgkmcnt(3)
	ds_bpermute_b32 v4, v7, v12
	s_waitcnt lgkmcnt(3)
	ds_bpermute_b32 v5, v7, v13
	v_or_b32_e32 v12, 8, v33
	v_cmp_lt_i32_e64 s[0:1], v12, v32
	;; [unrolled: 35-line block ×3, first 2 shown]
	s_and_b64 s[0:1], vcc, s[0:1]
	s_and_b64 exec, exec, s[0:1]
	s_cbranch_execz .LBB30_36
; %bb.35:
	v_mad_u64_u32 v[8:9], s[0:1], v7, s2, v[0:1]
	v_ashrrev_i32_e32 v9, 31, v8
	v_lshlrev_b64 v[8:9], 4, v[8:9]
	v_add_co_u32_e32 v10, vcc, v1, v8
	v_addc_co_u32_e32 v11, vcc, v6, v9, vcc
	global_load_dwordx4 v[6:9], v[10:11], off
	s_waitcnt lgkmcnt(0)
	v_mul_f64 v[0:1], s[22:23], v[4:5]
	v_mul_f64 v[4:5], s[20:21], v[4:5]
	v_fma_f64 v[0:1], s[20:21], v[2:3], -v[0:1]
	v_fmac_f64_e32 v[4:5], s[22:23], v[2:3]
	s_waitcnt vmcnt(0)
	v_mul_f64 v[2:3], s[16:17], v[8:9]
	v_mul_f64 v[8:9], s[14:15], v[8:9]
	v_fma_f64 v[2:3], s[14:15], v[6:7], -v[2:3]
	v_fmac_f64_e32 v[8:9], s[16:17], v[6:7]
	v_add_f64 v[0:1], v[0:1], v[2:3]
	v_add_f64 v[2:3], v[4:5], v[8:9]
	global_store_dwordx4 v[10:11], v[0:3], off
.LBB30_36:
	s_endpgm
	.section	.rodata,"a",@progbits
	.p2align	6, 0x0
	.amdhsa_kernel _ZN9rocsolver6v33100L16mfma_gemm_kernelI19rocblas_complex_numIdEiS3_PS3_S4_PKS4_EEv18rocblas_operation_S7_T0_S8_S8_T1_T2_lS8_S8_lT3_lS8_S8_lS9_T4_lS8_S8_l
		.amdhsa_group_segment_fixed_size 0
		.amdhsa_private_segment_fixed_size 0
		.amdhsa_kernarg_size 408
		.amdhsa_user_sgpr_count 6
		.amdhsa_user_sgpr_private_segment_buffer 1
		.amdhsa_user_sgpr_dispatch_ptr 0
		.amdhsa_user_sgpr_queue_ptr 0
		.amdhsa_user_sgpr_kernarg_segment_ptr 1
		.amdhsa_user_sgpr_dispatch_id 0
		.amdhsa_user_sgpr_flat_scratch_init 0
		.amdhsa_user_sgpr_kernarg_preload_length 0
		.amdhsa_user_sgpr_kernarg_preload_offset 0
		.amdhsa_user_sgpr_private_segment_size 0
		.amdhsa_uses_dynamic_stack 0
		.amdhsa_system_sgpr_private_segment_wavefront_offset 0
		.amdhsa_system_sgpr_workgroup_id_x 1
		.amdhsa_system_sgpr_workgroup_id_y 1
		.amdhsa_system_sgpr_workgroup_id_z 1
		.amdhsa_system_sgpr_workgroup_info 0
		.amdhsa_system_vgpr_workitem_id 1
		.amdhsa_next_free_vgpr 62
		.amdhsa_next_free_sgpr 44
		.amdhsa_accum_offset 64
		.amdhsa_reserve_vcc 1
		.amdhsa_reserve_flat_scratch 0
		.amdhsa_float_round_mode_32 0
		.amdhsa_float_round_mode_16_64 0
		.amdhsa_float_denorm_mode_32 3
		.amdhsa_float_denorm_mode_16_64 3
		.amdhsa_dx10_clamp 1
		.amdhsa_ieee_mode 1
		.amdhsa_fp16_overflow 0
		.amdhsa_tg_split 0
		.amdhsa_exception_fp_ieee_invalid_op 0
		.amdhsa_exception_fp_denorm_src 0
		.amdhsa_exception_fp_ieee_div_zero 0
		.amdhsa_exception_fp_ieee_overflow 0
		.amdhsa_exception_fp_ieee_underflow 0
		.amdhsa_exception_fp_ieee_inexact 0
		.amdhsa_exception_int_div_zero 0
	.end_amdhsa_kernel
	.section	.text._ZN9rocsolver6v33100L16mfma_gemm_kernelI19rocblas_complex_numIdEiS3_PS3_S4_PKS4_EEv18rocblas_operation_S7_T0_S8_S8_T1_T2_lS8_S8_lT3_lS8_S8_lS9_T4_lS8_S8_l,"axG",@progbits,_ZN9rocsolver6v33100L16mfma_gemm_kernelI19rocblas_complex_numIdEiS3_PS3_S4_PKS4_EEv18rocblas_operation_S7_T0_S8_S8_T1_T2_lS8_S8_lT3_lS8_S8_lS9_T4_lS8_S8_l,comdat
.Lfunc_end30:
	.size	_ZN9rocsolver6v33100L16mfma_gemm_kernelI19rocblas_complex_numIdEiS3_PS3_S4_PKS4_EEv18rocblas_operation_S7_T0_S8_S8_T1_T2_lS8_S8_lT3_lS8_S8_lS9_T4_lS8_S8_l, .Lfunc_end30-_ZN9rocsolver6v33100L16mfma_gemm_kernelI19rocblas_complex_numIdEiS3_PS3_S4_PKS4_EEv18rocblas_operation_S7_T0_S8_S8_T1_T2_lS8_S8_lT3_lS8_S8_lS9_T4_lS8_S8_l
                                        ; -- End function
	.section	.AMDGPU.csdata,"",@progbits
; Kernel info:
; codeLenInByte = 2452
; NumSgprs: 48
; NumVgprs: 62
; NumAgprs: 0
; TotalNumVgprs: 62
; ScratchSize: 0
; MemoryBound: 1
; FloatMode: 240
; IeeeMode: 1
; LDSByteSize: 0 bytes/workgroup (compile time only)
; SGPRBlocks: 5
; VGPRBlocks: 7
; NumSGPRsForWavesPerEU: 48
; NumVGPRsForWavesPerEU: 62
; AccumOffset: 64
; Occupancy: 8
; WaveLimiterHint : 1
; COMPUTE_PGM_RSRC2:SCRATCH_EN: 0
; COMPUTE_PGM_RSRC2:USER_SGPR: 6
; COMPUTE_PGM_RSRC2:TRAP_HANDLER: 0
; COMPUTE_PGM_RSRC2:TGID_X_EN: 1
; COMPUTE_PGM_RSRC2:TGID_Y_EN: 1
; COMPUTE_PGM_RSRC2:TGID_Z_EN: 1
; COMPUTE_PGM_RSRC2:TIDIG_COMP_CNT: 1
; COMPUTE_PGM_RSRC3_GFX90A:ACCUM_OFFSET: 15
; COMPUTE_PGM_RSRC3_GFX90A:TG_SPLIT: 0
	.section	.text._ZN9rocsolver6v33100L11gemm_kernelI19rocblas_complex_numIdEiPKS3_PS3_S6_PKS6_EEvT0_S9_S9_T1_bT2_lS9_S9_lbT3_lS9_S9_lSA_T4_lS9_S9_l,"axG",@progbits,_ZN9rocsolver6v33100L11gemm_kernelI19rocblas_complex_numIdEiPKS3_PS3_S6_PKS6_EEvT0_S9_S9_T1_bT2_lS9_S9_lbT3_lS9_S9_lSA_T4_lS9_S9_l,comdat
	.globl	_ZN9rocsolver6v33100L11gemm_kernelI19rocblas_complex_numIdEiPKS3_PS3_S6_PKS6_EEvT0_S9_S9_T1_bT2_lS9_S9_lbT3_lS9_S9_lSA_T4_lS9_S9_l ; -- Begin function _ZN9rocsolver6v33100L11gemm_kernelI19rocblas_complex_numIdEiPKS3_PS3_S6_PKS6_EEvT0_S9_S9_T1_bT2_lS9_S9_lbT3_lS9_S9_lSA_T4_lS9_S9_l
	.p2align	8
	.type	_ZN9rocsolver6v33100L11gemm_kernelI19rocblas_complex_numIdEiPKS3_PS3_S6_PKS6_EEvT0_S9_S9_T1_bT2_lS9_S9_lbT3_lS9_S9_lSA_T4_lS9_S9_l,@function
_ZN9rocsolver6v33100L11gemm_kernelI19rocblas_complex_numIdEiPKS3_PS3_S6_PKS6_EEvT0_S9_S9_T1_bT2_lS9_S9_lbT3_lS9_S9_lSA_T4_lS9_S9_l: ; @_ZN9rocsolver6v33100L11gemm_kernelI19rocblas_complex_numIdEiPKS3_PS3_S6_PKS6_EEvT0_S9_S9_T1_bT2_lS9_S9_lbT3_lS9_S9_lSA_T4_lS9_S9_l
; %bb.0:
	s_load_dword s0, s[4:5], 0x9c
	s_load_dwordx4 s[28:31], s[4:5], 0x0
	v_and_b32_e32 v1, 0x3ff, v0
	v_bfe_u32 v0, v0, 10, 10
	s_waitcnt lgkmcnt(0)
	s_lshr_b32 s1, s0, 16
	s_and_b32 s0, s0, 0xffff
	s_mul_i32 s6, s6, s0
	s_mul_i32 s7, s7, s1
	v_add_u32_e32 v8, s6, v1
	v_add_u32_e32 v9, s7, v0
	v_cmp_gt_i32_e32 vcc, s28, v8
	v_cmp_gt_i32_e64 s[0:1], s29, v9
	s_and_b64 s[0:1], vcc, s[0:1]
	s_and_saveexec_b64 s[2:3], s[0:1]
	s_cbranch_execz .LBB31_5
; %bb.1:
	s_load_dwordx8 s[12:19], s[4:5], 0x60
	s_load_dwordx2 s[28:29], s[4:5], 0x10
	s_ashr_i32 s9, s8, 31
	s_lshl_b64 s[0:1], s[8:9], 3
	v_pk_mov_b32 v[0:1], 0, 0
	s_waitcnt lgkmcnt(0)
	s_add_u32 s0, s16, s0
	s_addc_u32 s1, s17, s1
	s_load_dwordx2 s[6:7], s[0:1], 0x0
	s_cmp_lt_i32 s30, 1
	v_pk_mov_b32 v[2:3], v[0:1], v[0:1] op_sel:[0,1]
	s_cbranch_scc1 .LBB31_4
; %bb.2:
	s_load_dword s0, s[4:5], 0x18
	s_load_dwordx8 s[20:27], s[4:5], 0x20
	s_load_dword s1, s[4:5], 0x40
	s_load_dwordx4 s[36:39], s[4:5], 0x48
	s_load_dwordx2 s[16:17], s[4:5], 0x58
	s_waitcnt lgkmcnt(0)
	s_bitcmp1_b32 s0, 0
	s_cselect_b64 vcc, -1, 0
	s_bitcmp1_b32 s1, 0
	s_mul_i32 s2, s26, s9
	s_mul_hi_u32 s3, s26, s8
	s_cselect_b64 s[0:1], -1, 0
	s_add_i32 s2, s3, s2
	s_mul_i32 s3, s27, s8
	s_add_i32 s3, s2, s3
	s_mul_i32 s2, s26, s8
	s_lshl_b64 s[2:3], s[2:3], 4
	s_lshl_b64 s[10:11], s[22:23], 4
	s_add_u32 s2, s2, s10
	v_mul_lo_u32 v0, v8, s24
	s_addc_u32 s3, s3, s11
	v_ashrrev_i32_e32 v1, 31, v0
	s_add_u32 s2, s20, s2
	v_lshlrev_b64 v[0:1], 4, v[0:1]
	s_addc_u32 s3, s21, s3
	v_mov_b32_e32 v3, s3
	v_add_co_u32_e64 v0, s[2:3], s2, v0
	v_addc_co_u32_e64 v1, s[2:3], v3, v1, s[2:3]
	v_add_co_u32_e64 v4, s[2:3], 8, v0
	v_addc_co_u32_e64 v5, s[2:3], 0, v1, s[2:3]
	s_ashr_i32 s3, s25, 31
	s_mov_b32 s2, s25
	s_lshl_b64 s[10:11], s[2:3], 4
	s_mul_i32 s2, s12, s9
	s_mul_hi_u32 s3, s12, s8
	s_add_i32 s2, s3, s2
	s_mul_i32 s3, s13, s8
	s_add_i32 s3, s2, s3
	s_mul_i32 s2, s12, s8
	s_lshl_b64 s[2:3], s[2:3], 4
	s_lshl_b64 s[8:9], s[38:39], 4
	s_add_u32 s2, s2, s8
	v_mul_lo_u32 v2, v9, s17
	s_addc_u32 s3, s3, s9
	v_ashrrev_i32_e32 v3, 31, v2
	s_add_u32 s2, s36, s2
	v_lshlrev_b64 v[0:1], 4, v[2:3]
	s_addc_u32 s3, s37, s3
	v_mov_b32_e32 v2, s3
	v_add_co_u32_e64 v0, s[2:3], s2, v0
	v_addc_co_u32_e64 v1, s[2:3], v2, v1, s[2:3]
	v_add_co_u32_e64 v6, s[2:3], 8, v0
	s_ashr_i32 s17, s16, 31
	v_addc_co_u32_e64 v7, s[2:3], 0, v1, s[2:3]
	s_lshl_b64 s[8:9], s[16:17], 4
	v_pk_mov_b32 v[0:1], 0, 0
	v_mov_b32_e32 v10, s11
	v_mov_b32_e32 v11, s9
	v_pk_mov_b32 v[2:3], v[0:1], v[0:1] op_sel:[0,1]
.LBB31_3:                               ; =>This Inner Loop Header: Depth=1
	global_load_dwordx4 v[12:15], v[4:5], off offset:-8
	global_load_dwordx4 v[16:19], v[6:7], off offset:-8
	v_add_co_u32_e64 v4, s[2:3], s10, v4
	v_addc_co_u32_e64 v5, s[2:3], v5, v10, s[2:3]
	s_add_i32 s30, s30, -1
	v_add_co_u32_e64 v6, s[2:3], s8, v6
	v_addc_co_u32_e64 v7, s[2:3], v7, v11, s[2:3]
	s_cmp_eq_u32 s30, 0
	s_waitcnt vmcnt(1)
	v_xor_b32_e32 v20, 0x80000000, v15
	s_waitcnt vmcnt(0)
	v_xor_b32_e32 v21, 0x80000000, v19
	v_cndmask_b32_e32 v15, v15, v20, vcc
	v_cndmask_b32_e64 v19, v19, v21, s[0:1]
	v_mul_f64 v[20:21], v[14:15], v[18:19]
	v_mul_f64 v[14:15], v[14:15], v[16:17]
	v_fma_f64 v[16:17], v[12:13], v[16:17], -v[20:21]
	v_fmac_f64_e32 v[14:15], v[12:13], v[18:19]
	v_add_f64 v[2:3], v[2:3], v[16:17]
	v_add_f64 v[0:1], v[0:1], v[14:15]
	s_cbranch_scc0 .LBB31_3
.LBB31_4:
	s_load_dwordx4 s[8:11], s[28:29], 0x0
	s_load_dwordx4 s[0:3], s[14:15], 0x0
                                        ; kill: killed $sgpr28_sgpr29
                                        ; kill: killed $sgpr14_sgpr15
	s_nop 0
	s_load_dwordx2 s[4:5], s[4:5], 0x80
	s_lshl_b64 s[12:13], s[18:19], 4
	s_waitcnt lgkmcnt(0)
	s_add_u32 s6, s6, s12
	s_addc_u32 s7, s7, s13
	v_mov_b32_e32 v6, s7
	v_mul_lo_u32 v4, v8, s4
	v_mad_u64_u32 v[4:5], s[4:5], v9, s5, v[4:5]
	v_ashrrev_i32_e32 v5, 31, v4
	v_lshlrev_b64 v[4:5], 4, v[4:5]
	v_add_co_u32_e32 v8, vcc, s6, v4
	v_addc_co_u32_e32 v9, vcc, v6, v5, vcc
	global_load_dwordx4 v[4:7], v[8:9], off
	v_mul_f64 v[10:11], s[10:11], v[0:1]
	v_mul_f64 v[12:13], s[8:9], v[0:1]
	v_fma_f64 v[0:1], s[8:9], v[2:3], -v[10:11]
	v_fmac_f64_e32 v[12:13], s[10:11], v[2:3]
	s_waitcnt vmcnt(0)
	v_mul_f64 v[2:3], s[2:3], v[6:7]
	v_mul_f64 v[6:7], s[0:1], v[6:7]
	v_fma_f64 v[2:3], s[0:1], v[4:5], -v[2:3]
	v_fmac_f64_e32 v[6:7], s[2:3], v[4:5]
	v_add_f64 v[0:1], v[0:1], v[2:3]
	v_add_f64 v[2:3], v[12:13], v[6:7]
	global_store_dwordx4 v[8:9], v[0:3], off
.LBB31_5:
	s_endpgm
	.section	.rodata,"a",@progbits
	.p2align	6, 0x0
	.amdhsa_kernel _ZN9rocsolver6v33100L11gemm_kernelI19rocblas_complex_numIdEiPKS3_PS3_S6_PKS6_EEvT0_S9_S9_T1_bT2_lS9_S9_lbT3_lS9_S9_lSA_T4_lS9_S9_l
		.amdhsa_group_segment_fixed_size 0
		.amdhsa_private_segment_fixed_size 0
		.amdhsa_kernarg_size 400
		.amdhsa_user_sgpr_count 6
		.amdhsa_user_sgpr_private_segment_buffer 1
		.amdhsa_user_sgpr_dispatch_ptr 0
		.amdhsa_user_sgpr_queue_ptr 0
		.amdhsa_user_sgpr_kernarg_segment_ptr 1
		.amdhsa_user_sgpr_dispatch_id 0
		.amdhsa_user_sgpr_flat_scratch_init 0
		.amdhsa_user_sgpr_kernarg_preload_length 0
		.amdhsa_user_sgpr_kernarg_preload_offset 0
		.amdhsa_user_sgpr_private_segment_size 0
		.amdhsa_uses_dynamic_stack 0
		.amdhsa_system_sgpr_private_segment_wavefront_offset 0
		.amdhsa_system_sgpr_workgroup_id_x 1
		.amdhsa_system_sgpr_workgroup_id_y 1
		.amdhsa_system_sgpr_workgroup_id_z 1
		.amdhsa_system_sgpr_workgroup_info 0
		.amdhsa_system_vgpr_workitem_id 1
		.amdhsa_next_free_vgpr 22
		.amdhsa_next_free_sgpr 40
		.amdhsa_accum_offset 24
		.amdhsa_reserve_vcc 1
		.amdhsa_reserve_flat_scratch 0
		.amdhsa_float_round_mode_32 0
		.amdhsa_float_round_mode_16_64 0
		.amdhsa_float_denorm_mode_32 3
		.amdhsa_float_denorm_mode_16_64 3
		.amdhsa_dx10_clamp 1
		.amdhsa_ieee_mode 1
		.amdhsa_fp16_overflow 0
		.amdhsa_tg_split 0
		.amdhsa_exception_fp_ieee_invalid_op 0
		.amdhsa_exception_fp_denorm_src 0
		.amdhsa_exception_fp_ieee_div_zero 0
		.amdhsa_exception_fp_ieee_overflow 0
		.amdhsa_exception_fp_ieee_underflow 0
		.amdhsa_exception_fp_ieee_inexact 0
		.amdhsa_exception_int_div_zero 0
	.end_amdhsa_kernel
	.section	.text._ZN9rocsolver6v33100L11gemm_kernelI19rocblas_complex_numIdEiPKS3_PS3_S6_PKS6_EEvT0_S9_S9_T1_bT2_lS9_S9_lbT3_lS9_S9_lSA_T4_lS9_S9_l,"axG",@progbits,_ZN9rocsolver6v33100L11gemm_kernelI19rocblas_complex_numIdEiPKS3_PS3_S6_PKS6_EEvT0_S9_S9_T1_bT2_lS9_S9_lbT3_lS9_S9_lSA_T4_lS9_S9_l,comdat
.Lfunc_end31:
	.size	_ZN9rocsolver6v33100L11gemm_kernelI19rocblas_complex_numIdEiPKS3_PS3_S6_PKS6_EEvT0_S9_S9_T1_bT2_lS9_S9_lbT3_lS9_S9_lSA_T4_lS9_S9_l, .Lfunc_end31-_ZN9rocsolver6v33100L11gemm_kernelI19rocblas_complex_numIdEiPKS3_PS3_S6_PKS6_EEvT0_S9_S9_T1_bT2_lS9_S9_lbT3_lS9_S9_lSA_T4_lS9_S9_l
                                        ; -- End function
	.section	.AMDGPU.csdata,"",@progbits
; Kernel info:
; codeLenInByte = 788
; NumSgprs: 44
; NumVgprs: 22
; NumAgprs: 0
; TotalNumVgprs: 22
; ScratchSize: 0
; MemoryBound: 0
; FloatMode: 240
; IeeeMode: 1
; LDSByteSize: 0 bytes/workgroup (compile time only)
; SGPRBlocks: 5
; VGPRBlocks: 2
; NumSGPRsForWavesPerEU: 44
; NumVGPRsForWavesPerEU: 22
; AccumOffset: 24
; Occupancy: 8
; WaveLimiterHint : 1
; COMPUTE_PGM_RSRC2:SCRATCH_EN: 0
; COMPUTE_PGM_RSRC2:USER_SGPR: 6
; COMPUTE_PGM_RSRC2:TRAP_HANDLER: 0
; COMPUTE_PGM_RSRC2:TGID_X_EN: 1
; COMPUTE_PGM_RSRC2:TGID_Y_EN: 1
; COMPUTE_PGM_RSRC2:TGID_Z_EN: 1
; COMPUTE_PGM_RSRC2:TIDIG_COMP_CNT: 1
; COMPUTE_PGM_RSRC3_GFX90A:ACCUM_OFFSET: 5
; COMPUTE_PGM_RSRC3_GFX90A:TG_SPLIT: 0
	.section	.text._ZN9rocsolver6v33100L11gemm_kernelI19rocblas_complex_numIdEiS3_PS3_S4_PKS4_EEvT0_S7_S7_T1_bT2_lS7_S7_lbT3_lS7_S7_lS8_T4_lS7_S7_l,"axG",@progbits,_ZN9rocsolver6v33100L11gemm_kernelI19rocblas_complex_numIdEiS3_PS3_S4_PKS4_EEvT0_S7_S7_T1_bT2_lS7_S7_lbT3_lS7_S7_lS8_T4_lS7_S7_l,comdat
	.globl	_ZN9rocsolver6v33100L11gemm_kernelI19rocblas_complex_numIdEiS3_PS3_S4_PKS4_EEvT0_S7_S7_T1_bT2_lS7_S7_lbT3_lS7_S7_lS8_T4_lS7_S7_l ; -- Begin function _ZN9rocsolver6v33100L11gemm_kernelI19rocblas_complex_numIdEiS3_PS3_S4_PKS4_EEvT0_S7_S7_T1_bT2_lS7_S7_lbT3_lS7_S7_lS8_T4_lS7_S7_l
	.p2align	8
	.type	_ZN9rocsolver6v33100L11gemm_kernelI19rocblas_complex_numIdEiS3_PS3_S4_PKS4_EEvT0_S7_S7_T1_bT2_lS7_S7_lbT3_lS7_S7_lS8_T4_lS7_S7_l,@function
_ZN9rocsolver6v33100L11gemm_kernelI19rocblas_complex_numIdEiS3_PS3_S4_PKS4_EEvT0_S7_S7_T1_bT2_lS7_S7_lbT3_lS7_S7_lS8_T4_lS7_S7_l: ; @_ZN9rocsolver6v33100L11gemm_kernelI19rocblas_complex_numIdEiS3_PS3_S4_PKS4_EEvT0_S7_S7_T1_bT2_lS7_S7_lbT3_lS7_S7_lS8_T4_lS7_S7_l
; %bb.0:
	s_load_dword s0, s[4:5], 0xac
	s_load_dwordx4 s[28:31], s[4:5], 0x0
	v_and_b32_e32 v1, 0x3ff, v0
	v_bfe_u32 v0, v0, 10, 10
	s_waitcnt lgkmcnt(0)
	s_lshr_b32 s1, s0, 16
	s_and_b32 s0, s0, 0xffff
	s_mul_i32 s6, s6, s0
	s_mul_i32 s7, s7, s1
	v_add_u32_e32 v8, s6, v1
	v_add_u32_e32 v9, s7, v0
	v_cmp_gt_i32_e32 vcc, s28, v8
	v_cmp_gt_i32_e64 s[0:1], s29, v9
	s_and_b64 s[0:1], vcc, s[0:1]
	s_and_saveexec_b64 s[2:3], s[0:1]
	s_cbranch_execz .LBB32_5
; %bb.1:
	s_load_dwordx8 s[12:19], s[4:5], 0x68
	s_load_dwordx2 s[6:7], s[4:5], 0x88
	s_ashr_i32 s9, s8, 31
	s_lshl_b64 s[0:1], s[8:9], 3
	v_pk_mov_b32 v[0:1], 0, 0
	s_waitcnt lgkmcnt(0)
	s_add_u32 s0, s18, s0
	s_addc_u32 s1, s19, s1
	s_load_dwordx2 s[10:11], s[0:1], 0x0
	s_cmp_lt_i32 s30, 1
	v_pk_mov_b32 v[2:3], v[0:1], v[0:1] op_sel:[0,1]
	s_cbranch_scc1 .LBB32_4
; %bb.2:
	s_load_dword s0, s[4:5], 0x20
	s_load_dwordx8 s[20:27], s[4:5], 0x28
	s_load_dword s1, s[4:5], 0x48
	s_load_dwordx4 s[36:39], s[4:5], 0x50
	s_load_dwordx2 s[28:29], s[4:5], 0x60
	s_waitcnt lgkmcnt(0)
	s_bitcmp1_b32 s0, 0
	s_cselect_b64 vcc, -1, 0
	s_bitcmp1_b32 s1, 0
	s_mul_i32 s2, s26, s9
	s_mul_hi_u32 s3, s26, s8
	s_cselect_b64 s[0:1], -1, 0
	s_add_i32 s2, s3, s2
	s_mul_i32 s3, s27, s8
	s_add_i32 s3, s2, s3
	s_mul_i32 s2, s26, s8
	s_lshl_b64 s[2:3], s[2:3], 4
	s_lshl_b64 s[18:19], s[22:23], 4
	s_add_u32 s2, s2, s18
	v_mul_lo_u32 v0, v8, s24
	s_addc_u32 s3, s3, s19
	v_ashrrev_i32_e32 v1, 31, v0
	s_add_u32 s2, s20, s2
	v_lshlrev_b64 v[0:1], 4, v[0:1]
	s_addc_u32 s3, s21, s3
	v_mov_b32_e32 v3, s3
	v_add_co_u32_e64 v0, s[2:3], s2, v0
	v_addc_co_u32_e64 v1, s[2:3], v3, v1, s[2:3]
	v_add_co_u32_e64 v4, s[2:3], 8, v0
	v_addc_co_u32_e64 v5, s[2:3], 0, v1, s[2:3]
	s_ashr_i32 s3, s25, 31
	s_mov_b32 s2, s25
	s_lshl_b64 s[18:19], s[2:3], 4
	s_mul_i32 s2, s12, s9
	s_mul_hi_u32 s3, s12, s8
	s_add_i32 s2, s3, s2
	s_mul_i32 s3, s13, s8
	s_add_i32 s3, s2, s3
	s_mul_i32 s2, s12, s8
	s_lshl_b64 s[2:3], s[2:3], 4
	s_lshl_b64 s[8:9], s[38:39], 4
	s_add_u32 s2, s2, s8
	v_mul_lo_u32 v2, v9, s29
	s_addc_u32 s3, s3, s9
	v_ashrrev_i32_e32 v3, 31, v2
	s_add_u32 s2, s36, s2
	v_lshlrev_b64 v[0:1], 4, v[2:3]
	s_addc_u32 s3, s37, s3
	v_mov_b32_e32 v2, s3
	v_add_co_u32_e64 v0, s[2:3], s2, v0
	v_addc_co_u32_e64 v1, s[2:3], v2, v1, s[2:3]
	v_add_co_u32_e64 v6, s[2:3], 8, v0
	s_ashr_i32 s29, s28, 31
	v_addc_co_u32_e64 v7, s[2:3], 0, v1, s[2:3]
	s_lshl_b64 s[8:9], s[28:29], 4
	v_pk_mov_b32 v[0:1], 0, 0
	v_mov_b32_e32 v10, s19
	v_mov_b32_e32 v11, s9
	v_pk_mov_b32 v[2:3], v[0:1], v[0:1] op_sel:[0,1]
.LBB32_3:                               ; =>This Inner Loop Header: Depth=1
	global_load_dwordx4 v[12:15], v[4:5], off offset:-8
	global_load_dwordx4 v[16:19], v[6:7], off offset:-8
	v_add_co_u32_e64 v4, s[2:3], s18, v4
	v_addc_co_u32_e64 v5, s[2:3], v5, v10, s[2:3]
	s_add_i32 s30, s30, -1
	v_add_co_u32_e64 v6, s[2:3], s8, v6
	v_addc_co_u32_e64 v7, s[2:3], v7, v11, s[2:3]
	s_cmp_eq_u32 s30, 0
	s_waitcnt vmcnt(1)
	v_xor_b32_e32 v20, 0x80000000, v15
	s_waitcnt vmcnt(0)
	v_xor_b32_e32 v21, 0x80000000, v19
	v_cndmask_b32_e32 v15, v15, v20, vcc
	v_cndmask_b32_e64 v19, v19, v21, s[0:1]
	v_mul_f64 v[20:21], v[14:15], v[18:19]
	v_mul_f64 v[14:15], v[14:15], v[16:17]
	v_fma_f64 v[16:17], v[12:13], v[16:17], -v[20:21]
	v_fmac_f64_e32 v[14:15], v[12:13], v[18:19]
	v_add_f64 v[2:3], v[2:3], v[16:17]
	v_add_f64 v[0:1], v[0:1], v[14:15]
	s_cbranch_scc0 .LBB32_3
.LBB32_4:
	s_load_dwordx4 s[0:3], s[4:5], 0x10
	s_nop 0
	s_load_dwordx2 s[4:5], s[4:5], 0x90
	s_lshl_b64 s[6:7], s[6:7], 4
	s_waitcnt lgkmcnt(0)
	s_add_u32 s6, s10, s6
	s_addc_u32 s7, s11, s7
	v_mov_b32_e32 v6, s7
	v_mul_lo_u32 v4, v8, s4
	v_mad_u64_u32 v[4:5], s[4:5], v9, s5, v[4:5]
	v_ashrrev_i32_e32 v5, 31, v4
	v_lshlrev_b64 v[4:5], 4, v[4:5]
	v_add_co_u32_e32 v8, vcc, s6, v4
	v_addc_co_u32_e32 v9, vcc, v6, v5, vcc
	global_load_dwordx4 v[4:7], v[8:9], off
	v_mul_f64 v[10:11], s[2:3], v[0:1]
	v_mul_f64 v[12:13], s[0:1], v[0:1]
	v_fma_f64 v[0:1], s[0:1], v[2:3], -v[10:11]
	v_fmac_f64_e32 v[12:13], s[2:3], v[2:3]
	s_waitcnt vmcnt(0)
	v_mul_f64 v[2:3], s[16:17], v[6:7]
	v_mul_f64 v[6:7], s[14:15], v[6:7]
	v_fma_f64 v[2:3], s[14:15], v[4:5], -v[2:3]
	v_fmac_f64_e32 v[6:7], s[16:17], v[4:5]
	v_add_f64 v[0:1], v[0:1], v[2:3]
	v_add_f64 v[2:3], v[12:13], v[6:7]
	global_store_dwordx4 v[8:9], v[0:3], off
.LBB32_5:
	s_endpgm
	.section	.rodata,"a",@progbits
	.p2align	6, 0x0
	.amdhsa_kernel _ZN9rocsolver6v33100L11gemm_kernelI19rocblas_complex_numIdEiS3_PS3_S4_PKS4_EEvT0_S7_S7_T1_bT2_lS7_S7_lbT3_lS7_S7_lS8_T4_lS7_S7_l
		.amdhsa_group_segment_fixed_size 0
		.amdhsa_private_segment_fixed_size 0
		.amdhsa_kernarg_size 416
		.amdhsa_user_sgpr_count 6
		.amdhsa_user_sgpr_private_segment_buffer 1
		.amdhsa_user_sgpr_dispatch_ptr 0
		.amdhsa_user_sgpr_queue_ptr 0
		.amdhsa_user_sgpr_kernarg_segment_ptr 1
		.amdhsa_user_sgpr_dispatch_id 0
		.amdhsa_user_sgpr_flat_scratch_init 0
		.amdhsa_user_sgpr_kernarg_preload_length 0
		.amdhsa_user_sgpr_kernarg_preload_offset 0
		.amdhsa_user_sgpr_private_segment_size 0
		.amdhsa_uses_dynamic_stack 0
		.amdhsa_system_sgpr_private_segment_wavefront_offset 0
		.amdhsa_system_sgpr_workgroup_id_x 1
		.amdhsa_system_sgpr_workgroup_id_y 1
		.amdhsa_system_sgpr_workgroup_id_z 1
		.amdhsa_system_sgpr_workgroup_info 0
		.amdhsa_system_vgpr_workitem_id 1
		.amdhsa_next_free_vgpr 22
		.amdhsa_next_free_sgpr 40
		.amdhsa_accum_offset 24
		.amdhsa_reserve_vcc 1
		.amdhsa_reserve_flat_scratch 0
		.amdhsa_float_round_mode_32 0
		.amdhsa_float_round_mode_16_64 0
		.amdhsa_float_denorm_mode_32 3
		.amdhsa_float_denorm_mode_16_64 3
		.amdhsa_dx10_clamp 1
		.amdhsa_ieee_mode 1
		.amdhsa_fp16_overflow 0
		.amdhsa_tg_split 0
		.amdhsa_exception_fp_ieee_invalid_op 0
		.amdhsa_exception_fp_denorm_src 0
		.amdhsa_exception_fp_ieee_div_zero 0
		.amdhsa_exception_fp_ieee_overflow 0
		.amdhsa_exception_fp_ieee_underflow 0
		.amdhsa_exception_fp_ieee_inexact 0
		.amdhsa_exception_int_div_zero 0
	.end_amdhsa_kernel
	.section	.text._ZN9rocsolver6v33100L11gemm_kernelI19rocblas_complex_numIdEiS3_PS3_S4_PKS4_EEvT0_S7_S7_T1_bT2_lS7_S7_lbT3_lS7_S7_lS8_T4_lS7_S7_l,"axG",@progbits,_ZN9rocsolver6v33100L11gemm_kernelI19rocblas_complex_numIdEiS3_PS3_S4_PKS4_EEvT0_S7_S7_T1_bT2_lS7_S7_lbT3_lS7_S7_lS8_T4_lS7_S7_l,comdat
.Lfunc_end32:
	.size	_ZN9rocsolver6v33100L11gemm_kernelI19rocblas_complex_numIdEiS3_PS3_S4_PKS4_EEvT0_S7_S7_T1_bT2_lS7_S7_lbT3_lS7_S7_lS8_T4_lS7_S7_l, .Lfunc_end32-_ZN9rocsolver6v33100L11gemm_kernelI19rocblas_complex_numIdEiS3_PS3_S4_PKS4_EEvT0_S7_S7_T1_bT2_lS7_S7_lbT3_lS7_S7_lS8_T4_lS7_S7_l
                                        ; -- End function
	.section	.AMDGPU.csdata,"",@progbits
; Kernel info:
; codeLenInByte = 780
; NumSgprs: 44
; NumVgprs: 22
; NumAgprs: 0
; TotalNumVgprs: 22
; ScratchSize: 0
; MemoryBound: 0
; FloatMode: 240
; IeeeMode: 1
; LDSByteSize: 0 bytes/workgroup (compile time only)
; SGPRBlocks: 5
; VGPRBlocks: 2
; NumSGPRsForWavesPerEU: 44
; NumVGPRsForWavesPerEU: 22
; AccumOffset: 24
; Occupancy: 8
; WaveLimiterHint : 1
; COMPUTE_PGM_RSRC2:SCRATCH_EN: 0
; COMPUTE_PGM_RSRC2:USER_SGPR: 6
; COMPUTE_PGM_RSRC2:TRAP_HANDLER: 0
; COMPUTE_PGM_RSRC2:TGID_X_EN: 1
; COMPUTE_PGM_RSRC2:TGID_Y_EN: 1
; COMPUTE_PGM_RSRC2:TGID_Z_EN: 1
; COMPUTE_PGM_RSRC2:TIDIG_COMP_CNT: 1
; COMPUTE_PGM_RSRC3_GFX90A:ACCUM_OFFSET: 5
; COMPUTE_PGM_RSRC3_GFX90A:TG_SPLIT: 0
	.section	.text._ZN9rocsolver6v33100L16mfma_gemm_kernelI19rocblas_complex_numIdElPKS3_PS3_S6_S6_EEv18rocblas_operation_S7_T0_S8_S8_T1_T2_lS8_S8_lT3_lS8_S8_lS9_T4_lS8_S8_l,"axG",@progbits,_ZN9rocsolver6v33100L16mfma_gemm_kernelI19rocblas_complex_numIdElPKS3_PS3_S6_S6_EEv18rocblas_operation_S7_T0_S8_S8_T1_T2_lS8_S8_lT3_lS8_S8_lS9_T4_lS8_S8_l,comdat
	.globl	_ZN9rocsolver6v33100L16mfma_gemm_kernelI19rocblas_complex_numIdElPKS3_PS3_S6_S6_EEv18rocblas_operation_S7_T0_S8_S8_T1_T2_lS8_S8_lT3_lS8_S8_lS9_T4_lS8_S8_l ; -- Begin function _ZN9rocsolver6v33100L16mfma_gemm_kernelI19rocblas_complex_numIdElPKS3_PS3_S6_S6_EEv18rocblas_operation_S7_T0_S8_S8_T1_T2_lS8_S8_lT3_lS8_S8_lS9_T4_lS8_S8_l
	.p2align	8
	.type	_ZN9rocsolver6v33100L16mfma_gemm_kernelI19rocblas_complex_numIdElPKS3_PS3_S6_S6_EEv18rocblas_operation_S7_T0_S8_S8_T1_T2_lS8_S8_lT3_lS8_S8_lS9_T4_lS8_S8_l,@function
_ZN9rocsolver6v33100L16mfma_gemm_kernelI19rocblas_complex_numIdElPKS3_PS3_S6_S6_EEv18rocblas_operation_S7_T0_S8_S8_T1_T2_lS8_S8_lT3_lS8_S8_lS9_T4_lS8_S8_l: ; @_ZN9rocsolver6v33100L16mfma_gemm_kernelI19rocblas_complex_numIdElPKS3_PS3_S6_S6_EEv18rocblas_operation_S7_T0_S8_S8_T1_T2_lS8_S8_lT3_lS8_S8_lS9_T4_lS8_S8_l
; %bb.0:
	s_load_dword s0, s[4:5], 0xb4
	s_load_dwordx16 s[36:51], s[4:5], 0x8
	v_and_b32_e32 v4, 0x3ff, v0
	v_mov_b32_e32 v9, 0
	v_lshrrev_b32_e32 v8, 6, v4
	s_waitcnt lgkmcnt(0)
	s_lshr_b32 s2, s0, 16
	s_bfe_u32 s0, s0, 0xa0006
	v_bfe_u32 v0, v0, 10, 10
	v_mov_b32_e32 v1, v9
	v_mov_b32_e32 v2, s6
	;; [unrolled: 1-line block ×3, first 2 shown]
	v_mad_u64_u32 v[2:3], s[0:1], s0, v2, v[8:9]
	v_mad_u64_u32 v[0:1], s[0:1], s2, v5, v[0:1]
	v_lshlrev_b64 v[12:13], 4, v[2:3]
	v_lshlrev_b64 v[14:15], 4, v[0:1]
	v_cmp_gt_i64_e32 vcc, s[36:37], v[12:13]
	v_cmp_gt_i64_e64 s[0:1], s[38:39], v[14:15]
	s_and_b64 s[0:1], vcc, s[0:1]
	s_and_saveexec_b64 s[2:3], s[0:1]
	s_cbranch_execz .LBB33_36
; %bb.1:
	v_add_co_u32_e32 v6, vcc, 16, v12
	s_load_dwordx16 s[16:31], s[4:5], 0x48
	v_addc_co_u32_e32 v7, vcc, 0, v13, vcc
	s_and_b32 s0, s36, 15
	v_mov_b32_e32 v5, s0
	v_cmp_lt_u64_e32 vcc, s[36:37], v[6:7]
	v_cndmask_b32_e32 v8, 16, v5, vcc
	v_add_co_u32_e32 v6, vcc, 16, v14
	v_addc_co_u32_e32 v7, vcc, 0, v15, vcc
	s_and_b32 s0, s38, 15
	v_cmp_lt_u64_e32 vcc, s[38:39], v[6:7]
	s_load_dwordx4 s[52:55], s[42:43], 0x0
	s_waitcnt lgkmcnt(0)
	s_load_dwordx4 s[36:39], s[28:29], 0x0
	v_mov_b32_e32 v5, s0
	v_cndmask_b32_e32 v16, 16, v5, vcc
	v_mov_b32_e32 v17, v9
	v_bfe_u32 v18, v4, 2, 4
	v_mov_b32_e32 v19, v9
	v_cmp_lt_i64_e64 s[0:1], s[40:41], 1
	v_pk_mov_b32 v[36:37], 0, 0
	v_and_b32_e32 v43, 63, v4
	v_and_b32_e32 v10, 3, v4
	v_mov_b32_e32 v11, v9
	s_mov_b64 s[28:29], 0
	s_and_b64 vcc, exec, s[0:1]
	v_cmp_lt_u64_e64 s[0:1], v[18:19], v[16:17]
	v_mbcnt_lo_u32_b32 v46, -1, 0
	v_pk_mov_b32 v[38:39], v[36:37], v[36:37] op_sel:[0,1]
	v_pk_mov_b32 v[20:21], v[36:37], v[36:37] op_sel:[0,1]
	;; [unrolled: 1-line block ×7, first 2 shown]
	s_cbranch_vccnz .LBB33_28
; %bb.2:
	s_load_dwordx2 s[12:13], s[4:5], 0x0
	v_mov_b32_e32 v5, 0
	v_and_b32_e32 v4, 15, v43
	v_lshrrev_b32_e32 v28, 4, v43
	v_cmp_lt_u64_e64 s[6:7], v[4:5], v[8:9]
	s_waitcnt lgkmcnt(0)
	s_cmpk_lg_i32 s12, 0x6f
	s_cselect_b64 s[34:35], -1, 0
	s_cmpk_lg_i32 s13, 0x6f
	s_cselect_b64 s[42:43], -1, 0
	s_cmpk_eq_i32 s13, 0x6f
	s_cselect_b32 s9, s24, s22
	s_cselect_b32 s33, s25, s23
	s_cmpk_eq_i32 s12, 0x6f
	s_cselect_b32 s56, s48, s50
	s_cselect_b32 s57, s49, s51
	v_cmp_lt_u64_e64 s[14:15], v[4:5], v[16:17]
	v_mul_lo_u32 v5, s57, v2
	v_mul_lo_u32 v6, s56, v3
	v_mad_u64_u32 v[2:3], s[56:57], s56, v2, 0
	v_add3_u32 v3, v3, v6, v5
	v_mad_u64_u32 v[6:7], s[56:57], s50, v28, 0
	v_mov_b32_e32 v20, v7
	v_mad_u64_u32 v[20:21], s[56:57], s51, v28, v[20:21]
	s_cmpk_eq_i32 s12, 0x71
	v_mov_b32_e32 v7, v20
	s_cselect_b64 s[10:11], -1, 0
	s_cmpk_eq_i32 s13, 0x71
	v_lshlrev_b64 v[2:3], 8, v[2:3]
	v_lshlrev_b64 v[6:7], 4, v[6:7]
	s_mul_i32 s17, s17, s8
	s_mul_hi_u32 s56, s16, s8
	s_cselect_b64 s[12:13], -1, 0
	v_add_co_u32_e32 v5, vcc, v2, v6
	s_add_i32 s17, s56, s17
	s_mul_i32 s16, s16, s8
	v_addc_co_u32_e32 v6, vcc, v3, v7, vcc
	s_lshl_b64 s[16:17], s[16:17], 4
	v_mov_b32_e32 v23, s17
	v_add_co_u32_e32 v5, vcc, s16, v5
	v_addc_co_u32_e32 v24, vcc, v6, v23, vcc
	v_mad_u64_u32 v[6:7], s[56:57], s48, v4, 0
	v_mov_b32_e32 v20, v7
	v_mad_u64_u32 v[20:21], s[56:57], s49, v4, v[20:21]
	v_mov_b32_e32 v7, v20
	v_lshlrev_b64 v[6:7], 4, v[6:7]
	v_add_co_u32_e32 v5, vcc, v5, v6
	v_addc_co_u32_e32 v6, vcc, v24, v7, vcc
	v_mov_b32_e32 v7, s45
	v_add_co_u32_e32 v5, vcc, s44, v5
	v_addc_co_u32_e32 v6, vcc, v6, v7, vcc
	v_add_co_u32_e32 v34, vcc, 8, v5
	v_addc_co_u32_e32 v29, vcc, 0, v6, vcc
	v_mul_lo_u32 v5, s33, v0
	v_mul_lo_u32 v6, s9, v1
	v_mad_u64_u32 v[0:1], s[58:59], s9, v0, 0
	v_add3_u32 v1, v1, v6, v5
	v_mad_u64_u32 v[6:7], s[58:59], s24, v28, 0
	v_mov_b32_e32 v20, v7
	v_mad_u64_u32 v[20:21], s[58:59], s25, v28, v[20:21]
	v_mov_b32_e32 v7, v20
	v_lshlrev_b64 v[0:1], 8, v[0:1]
	v_lshlrev_b64 v[6:7], 4, v[6:7]
	s_mul_i32 s9, s27, s8
	s_mul_hi_u32 s17, s26, s8
	v_add_co_u32_e32 v5, vcc, v0, v6
	s_add_i32 s27, s17, s9
	s_mul_i32 s26, s26, s8
	v_addc_co_u32_e32 v6, vcc, v1, v7, vcc
	s_lshl_b64 s[26:27], s[26:27], 4
	v_mov_b32_e32 v21, s27
	v_add_co_u32_e32 v24, vcc, s26, v5
	v_addc_co_u32_e32 v25, vcc, v6, v21, vcc
	v_mad_u64_u32 v[6:7], s[58:59], s22, v4, 0
	v_mov_b32_e32 v20, v7
	v_lshl_or_b32 v22, v4, 2, v28
	v_mad_u64_u32 v[4:5], s[58:59], s23, v4, v[20:21]
	v_mov_b32_e32 v7, v4
	s_lshl_b64 s[46:47], s[46:47], 4
	s_lshl_b64 s[56:57], s[50:51], 6
	v_lshlrev_b64 v[4:5], 4, v[6:7]
	s_lshl_b64 s[20:21], s[20:21], 4
	v_add_co_u32_e32 v4, vcc, v24, v4
	s_add_u32 s9, s18, s20
	v_addc_co_u32_e32 v5, vcc, v25, v5, vcc
	s_addc_u32 s27, s19, s21
	v_mov_b32_e32 v6, s27
	v_add_co_u32_e32 v4, vcc, s9, v4
	v_addc_co_u32_e32 v5, vcc, v6, v5, vcc
	v_add_co_u32_e32 v40, vcc, 8, v4
	v_addc_co_u32_e32 v41, vcc, 0, v5, vcc
	v_mad_u64_u32 v[4:5], s[20:21], s50, v18, 0
	v_mov_b32_e32 v6, v5
	v_mad_u64_u32 v[6:7], s[20:21], s51, v18, v[6:7]
	v_mov_b32_e32 v5, v6
	v_lshlrev_b64 v[4:5], 4, v[4:5]
	v_add_co_u32_e32 v2, vcc, v2, v4
	v_addc_co_u32_e32 v3, vcc, v3, v5, vcc
	v_add_co_u32_e32 v6, vcc, s16, v2
	v_addc_co_u32_e32 v7, vcc, v3, v23, vcc
	v_mad_u64_u32 v[2:3], s[16:17], s48, v10, 0
	v_mov_b32_e32 v4, v3
	v_mad_u64_u32 v[4:5], s[16:17], s49, v10, v[4:5]
	v_mov_b32_e32 v3, v4
	v_lshlrev_b64 v[2:3], 4, v[2:3]
	v_add_co_u32_e32 v2, vcc, v6, v2
	v_addc_co_u32_e32 v3, vcc, v7, v3, vcc
	v_mov_b32_e32 v4, s45
	v_add_co_u32_e32 v2, vcc, s44, v2
	v_addc_co_u32_e32 v3, vcc, v3, v4, vcc
	v_add_co_u32_e32 v42, vcc, 8, v2
	v_addc_co_u32_e32 v35, vcc, 0, v3, vcc
	v_mad_u64_u32 v[2:3], s[16:17], s24, v18, 0
	v_mov_b32_e32 v4, v3
	v_mad_u64_u32 v[4:5], s[16:17], s25, v18, v[4:5]
	v_mov_b32_e32 v3, v4
	v_lshlrev_b64 v[2:3], 4, v[2:3]
	v_add_co_u32_e32 v0, vcc, v0, v2
	v_addc_co_u32_e32 v1, vcc, v1, v3, vcc
	v_add_co_u32_e32 v4, vcc, s26, v0
	v_addc_co_u32_e32 v5, vcc, v1, v21, vcc
	v_mad_u64_u32 v[0:1], s[16:17], s22, v10, 0
	v_mov_b32_e32 v2, v1
	v_mad_u64_u32 v[2:3], s[16:17], s23, v10, v[2:3]
	v_mov_b32_e32 v1, v2
	v_lshlrev_b64 v[0:1], 4, v[0:1]
	v_add_co_u32_e32 v0, vcc, v4, v0
	v_addc_co_u32_e32 v1, vcc, v5, v1, vcc
	v_mov_b32_e32 v2, s27
	v_add_co_u32_e32 v0, vcc, s9, v0
	v_addc_co_u32_e32 v1, vcc, v2, v1, vcc
	v_add_co_u32_e32 v44, vcc, 8, v0
	v_mbcnt_hi_u32_b32 v0, -1, v46
	v_pk_mov_b32 v[20:21], 0, 0
	v_and_or_b32 v0, v0, 64, v22
	v_cmp_lt_u64_e64 s[2:3], v[18:19], v[8:9]
	s_lshl_b64 s[18:19], s[24:25], 6
	s_lshl_b64 s[20:21], s[48:49], 6
	v_addc_co_u32_e32 v45, vcc, 0, v1, vcc
	s_lshl_b64 s[22:23], s[22:23], 6
	v_lshlrev_b32_e32 v47, 2, v0
	v_pk_mov_b32 v[24:25], v[20:21], v[20:21] op_sel:[0,1]
	v_pk_mov_b32 v[30:31], v[20:21], v[20:21] op_sel:[0,1]
	;; [unrolled: 1-line block ×7, first 2 shown]
	s_branch .LBB33_6
.LBB33_3:                               ;   in Loop: Header=BB33_6 Depth=1
	s_or_b64 exec, exec, s[24:25]
.LBB33_4:                               ;   in Loop: Header=BB33_6 Depth=1
	s_or_b64 exec, exec, s[16:17]
	s_waitcnt vmcnt(0)
	ds_bpermute_b32 v4, v47, v4
	ds_bpermute_b32 v5, v47, v5
	;; [unrolled: 1-line block ×4, first 2 shown]
.LBB33_5:                               ;   in Loop: Header=BB33_6 Depth=1
	s_waitcnt vmcnt(0) lgkmcnt(0)
	v_xor_b32_e32 v48, 0x80000000, v3
	v_cndmask_b32_e64 v3, v3, v48, s[10:11]
	v_cndmask_b32_e64 v2, v2, v2, s[10:11]
	v_xor_b32_e32 v48, 0x80000000, v7
	v_cndmask_b32_e64 v7, v7, v48, s[12:13]
	v_cndmask_b32_e64 v6, v6, v6, s[12:13]
	v_mfma_f64_16x16x4f64 v[48:55], v[0:1], v[4:5], 0
	s_add_u32 s28, s28, 4
	s_addc_u32 s29, s29, 0
	v_add_co_u32_e64 v34, s[16:17], s56, v34
	v_mfma_f64_16x16x4f64 v[56:63], v[2:3], v[6:7], 0
	s_nop 7
	s_nop 2
	v_add_f64 v[54:55], v[54:55], -v[62:63]
	v_pk_mov_b32 v[62:63], s[40:41], s[40:41] op_sel:[0,1]
	v_cmp_ge_i64_e32 vcc, s[28:29], v[62:63]
	v_mfma_f64_16x16x4f64 v[62:69], v[0:1], v[6:7], 0
	s_and_b64 vcc, exec, vcc
	v_add_f64 v[52:53], v[52:53], -v[60:61]
	v_add_f64 v[50:51], v[50:51], -v[58:59]
	;; [unrolled: 1-line block ×3, first 2 shown]
	v_add_f64 v[36:37], v[36:37], v[48:49]
	v_add_f64 v[32:33], v[32:33], v[50:51]
	;; [unrolled: 1-line block ×4, first 2 shown]
	v_mfma_f64_16x16x4f64 v[0:7], v[2:3], v[4:5], 0
	s_nop 7
	s_nop 2
	v_add_f64 v[0:1], v[62:63], v[0:1]
	v_add_f64 v[38:39], v[38:39], v[0:1]
	v_mov_b32_e32 v0, s57
	v_addc_co_u32_e64 v29, s[16:17], v29, v0, s[16:17]
	v_mov_b32_e32 v0, s19
	v_add_co_u32_e64 v40, s[16:17], s18, v40
	v_addc_co_u32_e64 v41, s[16:17], v41, v0, s[16:17]
	v_mov_b32_e32 v0, s21
	v_add_co_u32_e64 v42, s[16:17], s20, v42
	v_addc_co_u32_e64 v35, s[16:17], v35, v0, s[16:17]
	v_add_f64 v[6:7], v[68:69], v[6:7]
	v_add_f64 v[4:5], v[66:67], v[4:5]
	;; [unrolled: 1-line block ×3, first 2 shown]
	v_mov_b32_e32 v0, s23
	v_add_co_u32_e64 v44, s[16:17], s22, v44
	v_add_f64 v[30:31], v[30:31], v[2:3]
	v_add_f64 v[24:25], v[24:25], v[4:5]
	;; [unrolled: 1-line block ×3, first 2 shown]
	v_addc_co_u32_e64 v45, s[16:17], v45, v0, s[16:17]
	s_cbranch_vccnz .LBB33_28
.LBB33_6:                               ; =>This Inner Loop Header: Depth=1
	s_and_b64 vcc, exec, s[34:35]
	s_cbranch_vccz .LBB33_18
; %bb.7:                                ;   in Loop: Header=BB33_6 Depth=1
	v_pk_mov_b32 v[0:1], 0, 0
	s_mov_b64 s[16:17], 0
	v_pk_mov_b32 v[2:3], v[0:1], v[0:1] op_sel:[0,1]
	s_and_saveexec_b64 s[24:25], s[2:3]
	s_cbranch_execz .LBB33_11
; %bb.8:                                ;   in Loop: Header=BB33_6 Depth=1
	v_mov_b32_e32 v1, s29
	v_add_co_u32_e32 v0, vcc, s28, v10
	v_addc_co_u32_e32 v1, vcc, 0, v1, vcc
	v_pk_mov_b32 v[2:3], 0, 0
	v_cmp_gt_i64_e32 vcc, s[40:41], v[0:1]
	v_pk_mov_b32 v[0:1], v[2:3], v[2:3] op_sel:[0,1]
	s_and_saveexec_b64 s[26:27], vcc
	s_cbranch_execz .LBB33_10
; %bb.9:                                ;   in Loop: Header=BB33_6 Depth=1
	v_mov_b32_e32 v1, s47
	v_add_co_u32_e32 v0, vcc, s46, v42
	v_addc_co_u32_e32 v1, vcc, v35, v1, vcc
	global_load_dwordx4 v[0:3], v[0:1], off offset:-8
.LBB33_10:                              ;   in Loop: Header=BB33_6 Depth=1
	s_or_b64 exec, exec, s[26:27]
.LBB33_11:                              ;   in Loop: Header=BB33_6 Depth=1
	s_or_b64 exec, exec, s[24:25]
	s_waitcnt vmcnt(0)
	ds_bpermute_b32 v0, v47, v0
	ds_bpermute_b32 v1, v47, v1
	;; [unrolled: 1-line block ×4, first 2 shown]
	s_and_b64 vcc, exec, s[16:17]
	s_cbranch_vccnz .LBB33_19
.LBB33_12:                              ;   in Loop: Header=BB33_6 Depth=1
	s_and_b64 vcc, exec, s[42:43]
	s_cbranch_vccz .LBB33_24
.LBB33_13:                              ;   in Loop: Header=BB33_6 Depth=1
	v_pk_mov_b32 v[6:7], 0, 0
	s_mov_b64 s[16:17], 0
	v_pk_mov_b32 v[4:5], v[6:7], v[6:7] op_sel:[0,1]
	s_and_saveexec_b64 s[24:25], s[14:15]
	s_cbranch_execz .LBB33_17
; %bb.14:                               ;   in Loop: Header=BB33_6 Depth=1
	v_mov_b32_e32 v5, s29
	v_add_co_u32_e32 v4, vcc, s28, v28
	v_addc_co_u32_e32 v5, vcc, 0, v5, vcc
	v_pk_mov_b32 v[6:7], 0, 0
	v_cmp_gt_i64_e32 vcc, s[40:41], v[4:5]
	v_pk_mov_b32 v[4:5], v[6:7], v[6:7] op_sel:[0,1]
	s_and_saveexec_b64 s[26:27], vcc
	s_cbranch_execz .LBB33_16
; %bb.15:                               ;   in Loop: Header=BB33_6 Depth=1
	global_load_dwordx4 v[4:7], v[40:41], off offset:-8
.LBB33_16:                              ;   in Loop: Header=BB33_6 Depth=1
	s_or_b64 exec, exec, s[26:27]
.LBB33_17:                              ;   in Loop: Header=BB33_6 Depth=1
	s_or_b64 exec, exec, s[24:25]
	s_andn2_b64 vcc, exec, s[16:17]
	s_cbranch_vccnz .LBB33_5
	s_branch .LBB33_25
.LBB33_18:                              ;   in Loop: Header=BB33_6 Depth=1
                                        ; implicit-def: $vgpr2_vgpr3
	s_cbranch_execz .LBB33_12
.LBB33_19:                              ;   in Loop: Header=BB33_6 Depth=1
	s_waitcnt lgkmcnt(0)
	v_pk_mov_b32 v[2:3], 0, 0
	v_pk_mov_b32 v[0:1], v[2:3], v[2:3] op_sel:[0,1]
	s_and_saveexec_b64 s[16:17], s[6:7]
	s_cbranch_execz .LBB33_23
; %bb.20:                               ;   in Loop: Header=BB33_6 Depth=1
	v_mov_b32_e32 v1, s29
	v_add_co_u32_e32 v0, vcc, s28, v28
	v_addc_co_u32_e32 v1, vcc, 0, v1, vcc
	v_pk_mov_b32 v[2:3], 0, 0
	v_cmp_gt_i64_e32 vcc, s[40:41], v[0:1]
	v_pk_mov_b32 v[0:1], v[2:3], v[2:3] op_sel:[0,1]
	s_and_saveexec_b64 s[24:25], vcc
	s_cbranch_execz .LBB33_22
; %bb.21:                               ;   in Loop: Header=BB33_6 Depth=1
	v_mov_b32_e32 v1, s47
	v_add_co_u32_e32 v0, vcc, s46, v34
	v_addc_co_u32_e32 v1, vcc, v29, v1, vcc
	global_load_dwordx4 v[0:3], v[0:1], off offset:-8
.LBB33_22:                              ;   in Loop: Header=BB33_6 Depth=1
	s_or_b64 exec, exec, s[24:25]
.LBB33_23:                              ;   in Loop: Header=BB33_6 Depth=1
	s_or_b64 exec, exec, s[16:17]
	s_and_b64 vcc, exec, s[42:43]
	s_cbranch_vccnz .LBB33_13
.LBB33_24:                              ;   in Loop: Header=BB33_6 Depth=1
                                        ; implicit-def: $vgpr6_vgpr7
.LBB33_25:                              ;   in Loop: Header=BB33_6 Depth=1
	s_waitcnt vmcnt(0)
	v_pk_mov_b32 v[4:5], 0, 0
	v_pk_mov_b32 v[6:7], v[4:5], v[4:5] op_sel:[0,1]
	s_and_saveexec_b64 s[16:17], s[0:1]
	s_cbranch_execz .LBB33_4
; %bb.26:                               ;   in Loop: Header=BB33_6 Depth=1
	v_mov_b32_e32 v5, s29
	v_add_co_u32_e32 v4, vcc, s28, v10
	v_addc_co_u32_e32 v5, vcc, 0, v5, vcc
	v_pk_mov_b32 v[6:7], 0, 0
	v_cmp_gt_i64_e32 vcc, s[40:41], v[4:5]
	v_pk_mov_b32 v[4:5], v[6:7], v[6:7] op_sel:[0,1]
	s_and_saveexec_b64 s[24:25], vcc
	s_cbranch_execz .LBB33_3
; %bb.27:                               ;   in Loop: Header=BB33_6 Depth=1
	global_load_dwordx4 v[4:7], v[44:45], off offset:-8
	s_branch .LBB33_3
.LBB33_28:
	s_load_dwordx8 s[0:7], s[4:5], 0x88
	s_waitcnt lgkmcnt(0)
	s_mul_i32 s7, s8, s7
	s_mul_hi_u32 s9, s8, s6
	s_mul_i32 s6, s8, s6
	s_add_i32 s7, s9, s7
	s_lshl_b64 s[6:7], s[6:7], 4
	s_add_u32 s6, s30, s6
	s_addc_u32 s7, s31, s7
	s_lshl_b64 s[0:1], s[0:1], 4
	s_add_u32 s6, s6, s0
	v_mul_lo_u32 v2, v15, s4
	s_addc_u32 s7, s7, s1
	v_mul_lo_u32 v3, v14, s5
	v_mad_u64_u32 v[0:1], s[0:1], v14, s4, 0
	v_add3_u32 v1, v1, v3, v2
	v_mul_lo_u32 v4, v13, s2
	v_mul_lo_u32 v5, v12, s3
	v_mad_u64_u32 v[2:3], s[0:1], v12, s2, 0
	v_lshlrev_b64 v[0:1], 4, v[0:1]
	v_add3_u32 v3, v3, v5, v4
	v_mov_b32_e32 v4, s7
	v_add_co_u32_e32 v5, vcc, s6, v0
	v_addc_co_u32_e32 v4, vcc, v4, v1, vcc
	v_lshlrev_b64 v[0:1], 4, v[2:3]
	v_add_co_u32_e32 v6, vcc, v5, v0
	v_lshl_or_b32 v0, v43, 4, v18
	v_addc_co_u32_e32 v7, vcc, v4, v1, vcc
	v_mbcnt_hi_u32_b32 v1, -1, v46
	v_and_b32_e32 v0, 63, v0
	v_and_or_b32 v0, v1, 64, v0
	v_lshlrev_b32_e32 v12, 2, v0
	v_mad_u64_u32 v[0:1], s[0:1], v18, s4, 0
	v_mov_b32_e32 v2, v1
	v_mad_u64_u32 v[2:3], s[0:1], v18, s5, v[2:3]
	v_mov_b32_e32 v1, v2
	v_lshlrev_b64 v[4:5], 4, v[0:1]
	ds_bpermute_b32 v0, v12, v36
	ds_bpermute_b32 v1, v12, v37
	;; [unrolled: 1-line block ×4, first 2 shown]
	v_add_co_u32_e64 v6, s[0:1], v6, v4
	v_addc_co_u32_e64 v7, s[0:1], v7, v5, s[0:1]
	v_cmp_lt_u64_e32 vcc, v[18:19], v[16:17]
	v_cmp_lt_u64_e64 s[0:1], v[10:11], v[8:9]
	s_and_b64 s[0:1], vcc, s[0:1]
	s_and_saveexec_b64 s[4:5], s[0:1]
	s_cbranch_execz .LBB33_30
; %bb.29:
	v_mad_u64_u32 v[4:5], s[0:1], v10, s2, 0
	v_mov_b32_e32 v14, v5
	v_mad_u64_u32 v[14:15], s[0:1], v10, s3, v[14:15]
	v_mov_b32_e32 v5, v14
	v_lshlrev_b64 v[4:5], 4, v[4:5]
	v_add_co_u32_e64 v4, s[0:1], v6, v4
	v_addc_co_u32_e64 v5, s[0:1], v7, v5, s[0:1]
	global_load_dwordx4 v[14:17], v[4:5], off
	s_waitcnt lgkmcnt(0)
	v_mul_f64 v[18:19], s[54:55], v[2:3]
	v_mul_f64 v[2:3], s[52:53], v[2:3]
	v_fma_f64 v[18:19], s[52:53], v[0:1], -v[18:19]
	v_fmac_f64_e32 v[2:3], s[54:55], v[0:1]
	s_waitcnt vmcnt(0)
	v_mul_f64 v[0:1], s[38:39], v[16:17]
	v_mul_f64 v[16:17], s[36:37], v[16:17]
	v_fma_f64 v[0:1], s[36:37], v[14:15], -v[0:1]
	v_fmac_f64_e32 v[16:17], s[38:39], v[14:15]
	v_add_f64 v[0:1], v[18:19], v[0:1]
	v_add_f64 v[2:3], v[2:3], v[16:17]
	global_store_dwordx4 v[4:5], v[0:3], off
.LBB33_30:
	s_or_b64 exec, exec, s[4:5]
	s_waitcnt lgkmcnt(3)
	ds_bpermute_b32 v0, v12, v32
	s_waitcnt lgkmcnt(3)
	ds_bpermute_b32 v1, v12, v33
	;; [unrolled: 2-line block ×4, first 2 shown]
	v_or_b32_e32 v4, 4, v10
	v_mov_b32_e32 v5, v11
	v_cmp_lt_u64_e64 s[0:1], v[4:5], v[8:9]
	s_and_b64 s[0:1], vcc, s[0:1]
	s_and_saveexec_b64 s[4:5], s[0:1]
	s_cbranch_execz .LBB33_32
; %bb.31:
	v_mad_u64_u32 v[14:15], s[0:1], v4, s2, 0
	v_mov_b32_e32 v16, v15
	v_mad_u64_u32 v[4:5], s[0:1], v4, s3, v[16:17]
	v_mov_b32_e32 v15, v4
	v_lshlrev_b64 v[4:5], 4, v[14:15]
	v_add_co_u32_e64 v4, s[0:1], v6, v4
	v_addc_co_u32_e64 v5, s[0:1], v7, v5, s[0:1]
	global_load_dwordx4 v[14:17], v[4:5], off
	s_waitcnt lgkmcnt(0)
	v_mul_f64 v[18:19], s[54:55], v[2:3]
	v_mul_f64 v[2:3], s[52:53], v[2:3]
	v_fma_f64 v[18:19], s[52:53], v[0:1], -v[18:19]
	v_fmac_f64_e32 v[2:3], s[54:55], v[0:1]
	s_waitcnt vmcnt(0)
	v_mul_f64 v[0:1], s[38:39], v[16:17]
	v_mul_f64 v[16:17], s[36:37], v[16:17]
	v_fma_f64 v[0:1], s[36:37], v[14:15], -v[0:1]
	v_fmac_f64_e32 v[16:17], s[38:39], v[14:15]
	v_add_f64 v[0:1], v[18:19], v[0:1]
	v_add_f64 v[2:3], v[2:3], v[16:17]
	global_store_dwordx4 v[4:5], v[0:3], off
.LBB33_32:
	s_or_b64 exec, exec, s[4:5]
	s_waitcnt lgkmcnt(3)
	ds_bpermute_b32 v0, v12, v26
	s_waitcnt lgkmcnt(3)
	ds_bpermute_b32 v1, v12, v27
	;; [unrolled: 2-line block ×4, first 2 shown]
	v_or_b32_e32 v4, 8, v10
	v_mov_b32_e32 v5, v11
	v_cmp_lt_u64_e64 s[0:1], v[4:5], v[8:9]
	s_and_b64 s[0:1], vcc, s[0:1]
	s_and_saveexec_b64 s[4:5], s[0:1]
	s_cbranch_execz .LBB33_34
; %bb.33:
	v_mad_u64_u32 v[14:15], s[0:1], v4, s2, 0
	v_mov_b32_e32 v16, v15
	v_mad_u64_u32 v[4:5], s[0:1], v4, s3, v[16:17]
	v_mov_b32_e32 v15, v4
	v_lshlrev_b64 v[4:5], 4, v[14:15]
	v_add_co_u32_e64 v4, s[0:1], v6, v4
	v_addc_co_u32_e64 v5, s[0:1], v7, v5, s[0:1]
	global_load_dwordx4 v[14:17], v[4:5], off
	s_waitcnt lgkmcnt(0)
	v_mul_f64 v[18:19], s[54:55], v[2:3]
	v_mul_f64 v[2:3], s[52:53], v[2:3]
	v_fma_f64 v[18:19], s[52:53], v[0:1], -v[18:19]
	v_fmac_f64_e32 v[2:3], s[54:55], v[0:1]
	s_waitcnt vmcnt(0)
	v_mul_f64 v[0:1], s[38:39], v[16:17]
	v_mul_f64 v[16:17], s[36:37], v[16:17]
	v_fma_f64 v[0:1], s[36:37], v[14:15], -v[0:1]
	v_fmac_f64_e32 v[16:17], s[38:39], v[14:15]
	v_add_f64 v[0:1], v[18:19], v[0:1]
	v_add_f64 v[2:3], v[2:3], v[16:17]
	global_store_dwordx4 v[4:5], v[0:3], off
.LBB33_34:
	s_or_b64 exec, exec, s[4:5]
	s_waitcnt lgkmcnt(3)
	ds_bpermute_b32 v0, v12, v22
	s_waitcnt lgkmcnt(3)
	ds_bpermute_b32 v1, v12, v23
	;; [unrolled: 2-line block ×4, first 2 shown]
	v_or_b32_e32 v10, 12, v10
	v_cmp_lt_u64_e64 s[0:1], v[10:11], v[8:9]
	s_and_b64 s[0:1], vcc, s[0:1]
	s_and_b64 exec, exec, s[0:1]
	s_cbranch_execz .LBB33_36
; %bb.35:
	v_mad_u64_u32 v[4:5], s[0:1], v10, s2, 0
	v_mov_b32_e32 v8, v5
	v_mad_u64_u32 v[8:9], s[0:1], v10, s3, v[8:9]
	v_mov_b32_e32 v5, v8
	v_lshlrev_b64 v[4:5], 4, v[4:5]
	v_add_co_u32_e32 v8, vcc, v6, v4
	v_addc_co_u32_e32 v9, vcc, v7, v5, vcc
	global_load_dwordx4 v[4:7], v[8:9], off
	s_waitcnt lgkmcnt(0)
	v_mul_f64 v[10:11], s[54:55], v[2:3]
	v_mul_f64 v[2:3], s[52:53], v[2:3]
	v_fma_f64 v[10:11], s[52:53], v[0:1], -v[10:11]
	v_fmac_f64_e32 v[2:3], s[54:55], v[0:1]
	s_waitcnt vmcnt(0)
	v_mul_f64 v[0:1], s[38:39], v[6:7]
	v_mul_f64 v[6:7], s[36:37], v[6:7]
	v_fma_f64 v[0:1], s[36:37], v[4:5], -v[0:1]
	v_fmac_f64_e32 v[6:7], s[38:39], v[4:5]
	v_add_f64 v[0:1], v[10:11], v[0:1]
	v_add_f64 v[2:3], v[2:3], v[6:7]
	global_store_dwordx4 v[8:9], v[0:3], off
.LBB33_36:
	s_endpgm
	.section	.rodata,"a",@progbits
	.p2align	6, 0x0
	.amdhsa_kernel _ZN9rocsolver6v33100L16mfma_gemm_kernelI19rocblas_complex_numIdElPKS3_PS3_S6_S6_EEv18rocblas_operation_S7_T0_S8_S8_T1_T2_lS8_S8_lT3_lS8_S8_lS9_T4_lS8_S8_l
		.amdhsa_group_segment_fixed_size 0
		.amdhsa_private_segment_fixed_size 0
		.amdhsa_kernarg_size 424
		.amdhsa_user_sgpr_count 6
		.amdhsa_user_sgpr_private_segment_buffer 1
		.amdhsa_user_sgpr_dispatch_ptr 0
		.amdhsa_user_sgpr_queue_ptr 0
		.amdhsa_user_sgpr_kernarg_segment_ptr 1
		.amdhsa_user_sgpr_dispatch_id 0
		.amdhsa_user_sgpr_flat_scratch_init 0
		.amdhsa_user_sgpr_kernarg_preload_length 0
		.amdhsa_user_sgpr_kernarg_preload_offset 0
		.amdhsa_user_sgpr_private_segment_size 0
		.amdhsa_uses_dynamic_stack 0
		.amdhsa_system_sgpr_private_segment_wavefront_offset 0
		.amdhsa_system_sgpr_workgroup_id_x 1
		.amdhsa_system_sgpr_workgroup_id_y 1
		.amdhsa_system_sgpr_workgroup_id_z 1
		.amdhsa_system_sgpr_workgroup_info 0
		.amdhsa_system_vgpr_workitem_id 1
		.amdhsa_next_free_vgpr 70
		.amdhsa_next_free_sgpr 60
		.amdhsa_accum_offset 72
		.amdhsa_reserve_vcc 1
		.amdhsa_reserve_flat_scratch 0
		.amdhsa_float_round_mode_32 0
		.amdhsa_float_round_mode_16_64 0
		.amdhsa_float_denorm_mode_32 3
		.amdhsa_float_denorm_mode_16_64 3
		.amdhsa_dx10_clamp 1
		.amdhsa_ieee_mode 1
		.amdhsa_fp16_overflow 0
		.amdhsa_tg_split 0
		.amdhsa_exception_fp_ieee_invalid_op 0
		.amdhsa_exception_fp_denorm_src 0
		.amdhsa_exception_fp_ieee_div_zero 0
		.amdhsa_exception_fp_ieee_overflow 0
		.amdhsa_exception_fp_ieee_underflow 0
		.amdhsa_exception_fp_ieee_inexact 0
		.amdhsa_exception_int_div_zero 0
	.end_amdhsa_kernel
	.section	.text._ZN9rocsolver6v33100L16mfma_gemm_kernelI19rocblas_complex_numIdElPKS3_PS3_S6_S6_EEv18rocblas_operation_S7_T0_S8_S8_T1_T2_lS8_S8_lT3_lS8_S8_lS9_T4_lS8_S8_l,"axG",@progbits,_ZN9rocsolver6v33100L16mfma_gemm_kernelI19rocblas_complex_numIdElPKS3_PS3_S6_S6_EEv18rocblas_operation_S7_T0_S8_S8_T1_T2_lS8_S8_lT3_lS8_S8_lS9_T4_lS8_S8_l,comdat
.Lfunc_end33:
	.size	_ZN9rocsolver6v33100L16mfma_gemm_kernelI19rocblas_complex_numIdElPKS3_PS3_S6_S6_EEv18rocblas_operation_S7_T0_S8_S8_T1_T2_lS8_S8_lT3_lS8_S8_lS9_T4_lS8_S8_l, .Lfunc_end33-_ZN9rocsolver6v33100L16mfma_gemm_kernelI19rocblas_complex_numIdElPKS3_PS3_S6_S6_EEv18rocblas_operation_S7_T0_S8_S8_T1_T2_lS8_S8_lT3_lS8_S8_lS9_T4_lS8_S8_l
                                        ; -- End function
	.section	.AMDGPU.csdata,"",@progbits
; Kernel info:
; codeLenInByte = 3036
; NumSgprs: 64
; NumVgprs: 70
; NumAgprs: 0
; TotalNumVgprs: 70
; ScratchSize: 0
; MemoryBound: 1
; FloatMode: 240
; IeeeMode: 1
; LDSByteSize: 0 bytes/workgroup (compile time only)
; SGPRBlocks: 7
; VGPRBlocks: 8
; NumSGPRsForWavesPerEU: 64
; NumVGPRsForWavesPerEU: 70
; AccumOffset: 72
; Occupancy: 7
; WaveLimiterHint : 0
; COMPUTE_PGM_RSRC2:SCRATCH_EN: 0
; COMPUTE_PGM_RSRC2:USER_SGPR: 6
; COMPUTE_PGM_RSRC2:TRAP_HANDLER: 0
; COMPUTE_PGM_RSRC2:TGID_X_EN: 1
; COMPUTE_PGM_RSRC2:TGID_Y_EN: 1
; COMPUTE_PGM_RSRC2:TGID_Z_EN: 1
; COMPUTE_PGM_RSRC2:TIDIG_COMP_CNT: 1
; COMPUTE_PGM_RSRC3_GFX90A:ACCUM_OFFSET: 17
; COMPUTE_PGM_RSRC3_GFX90A:TG_SPLIT: 0
	.section	.text._ZN9rocsolver6v33100L16mfma_gemm_kernelI19rocblas_complex_numIdElS3_PS3_S4_S4_EEv18rocblas_operation_S5_T0_S6_S6_T1_T2_lS6_S6_lT3_lS6_S6_lS7_T4_lS6_S6_l,"axG",@progbits,_ZN9rocsolver6v33100L16mfma_gemm_kernelI19rocblas_complex_numIdElS3_PS3_S4_S4_EEv18rocblas_operation_S5_T0_S6_S6_T1_T2_lS6_S6_lT3_lS6_S6_lS7_T4_lS6_S6_l,comdat
	.globl	_ZN9rocsolver6v33100L16mfma_gemm_kernelI19rocblas_complex_numIdElS3_PS3_S4_S4_EEv18rocblas_operation_S5_T0_S6_S6_T1_T2_lS6_S6_lT3_lS6_S6_lS7_T4_lS6_S6_l ; -- Begin function _ZN9rocsolver6v33100L16mfma_gemm_kernelI19rocblas_complex_numIdElS3_PS3_S4_S4_EEv18rocblas_operation_S5_T0_S6_S6_T1_T2_lS6_S6_lT3_lS6_S6_lS7_T4_lS6_S6_l
	.p2align	8
	.type	_ZN9rocsolver6v33100L16mfma_gemm_kernelI19rocblas_complex_numIdElS3_PS3_S4_S4_EEv18rocblas_operation_S5_T0_S6_S6_T1_T2_lS6_S6_lT3_lS6_S6_lS7_T4_lS6_S6_l,@function
_ZN9rocsolver6v33100L16mfma_gemm_kernelI19rocblas_complex_numIdElS3_PS3_S4_S4_EEv18rocblas_operation_S5_T0_S6_S6_T1_T2_lS6_S6_lT3_lS6_S6_lS7_T4_lS6_S6_l: ; @_ZN9rocsolver6v33100L16mfma_gemm_kernelI19rocblas_complex_numIdElS3_PS3_S4_S4_EEv18rocblas_operation_S5_T0_S6_S6_T1_T2_lS6_S6_lT3_lS6_S6_lS7_T4_lS6_S6_l
; %bb.0:
	s_load_dword s0, s[4:5], 0xc4
	s_load_dwordx16 s[12:27], s[4:5], 0x8
	v_and_b32_e32 v4, 0x3ff, v0
	v_mov_b32_e32 v9, 0
	v_lshrrev_b32_e32 v8, 6, v4
	s_waitcnt lgkmcnt(0)
	s_lshr_b32 s2, s0, 16
	s_bfe_u32 s0, s0, 0xa0006
	v_bfe_u32 v0, v0, 10, 10
	v_mov_b32_e32 v1, v9
	v_mov_b32_e32 v2, s6
	;; [unrolled: 1-line block ×3, first 2 shown]
	v_mad_u64_u32 v[2:3], s[0:1], s0, v2, v[8:9]
	v_mad_u64_u32 v[0:1], s[0:1], s2, v5, v[0:1]
	v_lshlrev_b64 v[12:13], 4, v[2:3]
	v_lshlrev_b64 v[16:17], 4, v[0:1]
	v_cmp_gt_i64_e32 vcc, s[12:13], v[12:13]
	v_cmp_gt_i64_e64 s[0:1], s[14:15], v[16:17]
	s_and_b64 s[0:1], vcc, s[0:1]
	s_and_saveexec_b64 s[2:3], s[0:1]
	s_cbranch_execz .LBB34_36
; %bb.1:
	v_add_co_u32_e32 v6, vcc, 16, v12
	v_addc_co_u32_e32 v7, vcc, 0, v13, vcc
	s_and_b32 s0, s12, 15
	s_load_dwordx16 s[36:51], s[4:5], 0x48
	s_load_dwordx4 s[28:31], s[4:5], 0xa8
	s_load_dwordx8 s[52:59], s[4:5], 0x88
	v_mov_b32_e32 v5, s0
	v_cmp_lt_u64_e32 vcc, s[12:13], v[6:7]
	v_cndmask_b32_e32 v8, 16, v5, vcc
	v_add_co_u32_e32 v6, vcc, 16, v16
	v_addc_co_u32_e32 v7, vcc, 0, v17, vcc
	s_and_b32 s0, s14, 15
	v_mov_b32_e32 v5, s0
	v_cmp_lt_u64_e32 vcc, s[14:15], v[6:7]
	v_cndmask_b32_e32 v14, 16, v5, vcc
	v_mov_b32_e32 v15, v9
	v_bfe_u32 v18, v4, 2, 4
	v_mov_b32_e32 v19, v9
	v_cmp_lt_i64_e64 s[0:1], s[16:17], 1
	v_pk_mov_b32 v[36:37], 0, 0
	v_and_b32_e32 v46, 63, v4
	v_and_b32_e32 v10, 3, v4
	v_mov_b32_e32 v11, v9
	s_mov_b64 s[34:35], 0
	s_and_b64 vcc, exec, s[0:1]
	v_cmp_lt_u64_e64 s[0:1], v[18:19], v[14:15]
	v_mbcnt_lo_u32_b32 v43, -1, 0
	v_pk_mov_b32 v[38:39], v[36:37], v[36:37] op_sel:[0,1]
	v_pk_mov_b32 v[20:21], v[36:37], v[36:37] op_sel:[0,1]
	;; [unrolled: 1-line block ×7, first 2 shown]
	s_cbranch_vccnz .LBB34_28
; %bb.2:
	s_load_dwordx2 s[10:11], s[4:5], 0x0
	v_mov_b32_e32 v5, 0
	v_and_b32_e32 v4, 15, v46
	v_lshrrev_b32_e32 v28, 4, v46
	v_cmp_lt_u64_e64 s[4:5], v[4:5], v[8:9]
	s_waitcnt lgkmcnt(0)
	s_cmpk_lg_i32 s10, 0x6f
	s_cselect_b64 s[60:61], -1, 0
	s_cmpk_lg_i32 s11, 0x6f
	s_cselect_b64 s[62:63], -1, 0
	s_cmpk_eq_i32 s11, 0x6f
	s_cselect_b32 s9, s46, s44
	s_cselect_b32 s33, s47, s45
	s_cmpk_eq_i32 s10, 0x6f
	s_cselect_b32 s14, s26, s36
	s_cselect_b32 s15, s27, s37
	v_cmp_lt_u64_e64 s[6:7], v[4:5], v[14:15]
	v_mul_lo_u32 v5, s15, v2
	v_mul_lo_u32 v6, s14, v3
	v_mad_u64_u32 v[2:3], s[14:15], s14, v2, 0
	v_add3_u32 v3, v3, v6, v5
	v_mad_u64_u32 v[6:7], s[14:15], s36, v28, 0
	v_mov_b32_e32 v20, v7
	v_mad_u64_u32 v[20:21], s[14:15], s37, v28, v[20:21]
	s_cmpk_eq_i32 s10, 0x71
	v_mov_b32_e32 v7, v20
	s_cselect_b64 s[12:13], -1, 0
	s_cmpk_eq_i32 s11, 0x71
	v_lshlrev_b64 v[2:3], 8, v[2:3]
	v_lshlrev_b64 v[6:7], 4, v[6:7]
	s_mul_i32 s14, s39, s8
	s_mul_hi_u32 s15, s38, s8
	s_cselect_b64 s[10:11], -1, 0
	v_add_co_u32_e32 v5, vcc, v2, v6
	s_add_i32 s15, s15, s14
	s_mul_i32 s14, s38, s8
	v_addc_co_u32_e32 v6, vcc, v3, v7, vcc
	s_lshl_b64 s[14:15], s[14:15], 4
	v_mov_b32_e32 v23, s15
	v_add_co_u32_e32 v5, vcc, s14, v5
	v_addc_co_u32_e32 v24, vcc, v6, v23, vcc
	v_mad_u64_u32 v[6:7], s[38:39], s26, v4, 0
	v_mov_b32_e32 v20, v7
	v_mad_u64_u32 v[20:21], s[38:39], s27, v4, v[20:21]
	v_mov_b32_e32 v7, v20
	v_lshlrev_b64 v[6:7], 4, v[6:7]
	v_add_co_u32_e32 v5, vcc, v5, v6
	v_addc_co_u32_e32 v6, vcc, v24, v7, vcc
	v_mov_b32_e32 v7, s23
	v_add_co_u32_e32 v5, vcc, s22, v5
	v_addc_co_u32_e32 v6, vcc, v6, v7, vcc
	v_add_co_u32_e32 v34, vcc, 8, v5
	v_addc_co_u32_e32 v29, vcc, 0, v6, vcc
	v_mul_lo_u32 v5, s33, v0
	v_mul_lo_u32 v6, s9, v1
	v_mad_u64_u32 v[0:1], s[64:65], s9, v0, 0
	v_add3_u32 v1, v1, v6, v5
	v_mad_u64_u32 v[6:7], s[64:65], s46, v28, 0
	v_mov_b32_e32 v20, v7
	v_mad_u64_u32 v[20:21], s[64:65], s47, v28, v[20:21]
	v_mov_b32_e32 v7, v20
	v_lshlrev_b64 v[0:1], 8, v[0:1]
	v_lshlrev_b64 v[6:7], 4, v[6:7]
	s_mul_i32 s9, s49, s8
	s_mul_hi_u32 s15, s48, s8
	v_add_co_u32_e32 v5, vcc, v0, v6
	s_add_i32 s49, s15, s9
	s_mul_i32 s48, s48, s8
	v_addc_co_u32_e32 v6, vcc, v1, v7, vcc
	s_lshl_b64 s[48:49], s[48:49], 4
	v_mov_b32_e32 v21, s49
	v_add_co_u32_e32 v24, vcc, s48, v5
	v_addc_co_u32_e32 v25, vcc, v6, v21, vcc
	v_mad_u64_u32 v[6:7], s[64:65], s44, v4, 0
	v_mov_b32_e32 v20, v7
	v_lshl_or_b32 v22, v4, 2, v28
	v_mad_u64_u32 v[4:5], s[64:65], s45, v4, v[20:21]
	v_mov_b32_e32 v7, v4
	s_lshl_b64 s[24:25], s[24:25], 4
	s_lshl_b64 s[38:39], s[36:37], 6
	v_lshlrev_b64 v[4:5], 4, v[6:7]
	s_lshl_b64 s[42:43], s[42:43], 4
	v_add_co_u32_e32 v4, vcc, v24, v4
	s_add_u32 s9, s40, s42
	v_addc_co_u32_e32 v5, vcc, v25, v5, vcc
	s_addc_u32 s33, s41, s43
	v_mov_b32_e32 v6, s33
	v_add_co_u32_e32 v4, vcc, s9, v4
	v_addc_co_u32_e32 v5, vcc, v6, v5, vcc
	v_add_co_u32_e32 v40, vcc, 8, v4
	v_addc_co_u32_e32 v41, vcc, 0, v5, vcc
	v_mad_u64_u32 v[4:5], s[42:43], s36, v18, 0
	v_mov_b32_e32 v6, v5
	v_mad_u64_u32 v[6:7], s[36:37], s37, v18, v[6:7]
	v_mov_b32_e32 v5, v6
	v_lshlrev_b64 v[4:5], 4, v[4:5]
	v_add_co_u32_e32 v2, vcc, v2, v4
	v_addc_co_u32_e32 v3, vcc, v3, v5, vcc
	v_add_co_u32_e32 v6, vcc, s14, v2
	v_addc_co_u32_e32 v7, vcc, v3, v23, vcc
	v_mad_u64_u32 v[2:3], s[14:15], s26, v10, 0
	v_mov_b32_e32 v4, v3
	v_mad_u64_u32 v[4:5], s[14:15], s27, v10, v[4:5]
	v_mov_b32_e32 v3, v4
	v_lshlrev_b64 v[2:3], 4, v[2:3]
	v_add_co_u32_e32 v2, vcc, v6, v2
	v_addc_co_u32_e32 v3, vcc, v7, v3, vcc
	v_mov_b32_e32 v4, s23
	v_add_co_u32_e32 v2, vcc, s22, v2
	v_addc_co_u32_e32 v3, vcc, v3, v4, vcc
	v_add_co_u32_e32 v42, vcc, 8, v2
	v_addc_co_u32_e32 v35, vcc, 0, v3, vcc
	v_mad_u64_u32 v[2:3], s[14:15], s46, v18, 0
	v_mov_b32_e32 v4, v3
	v_mad_u64_u32 v[4:5], s[14:15], s47, v18, v[4:5]
	v_mov_b32_e32 v3, v4
	v_lshlrev_b64 v[2:3], 4, v[2:3]
	v_add_co_u32_e32 v0, vcc, v0, v2
	v_addc_co_u32_e32 v1, vcc, v1, v3, vcc
	v_add_co_u32_e32 v4, vcc, s48, v0
	v_addc_co_u32_e32 v5, vcc, v1, v21, vcc
	v_mad_u64_u32 v[0:1], s[14:15], s44, v10, 0
	v_mov_b32_e32 v2, v1
	v_mad_u64_u32 v[2:3], s[14:15], s45, v10, v[2:3]
	v_mov_b32_e32 v1, v2
	v_lshlrev_b64 v[0:1], 4, v[0:1]
	v_add_co_u32_e32 v0, vcc, v4, v0
	v_addc_co_u32_e32 v1, vcc, v5, v1, vcc
	v_mov_b32_e32 v2, s33
	v_add_co_u32_e32 v0, vcc, s9, v0
	v_addc_co_u32_e32 v1, vcc, v2, v1, vcc
	v_add_co_u32_e32 v44, vcc, 8, v0
	v_mbcnt_hi_u32_b32 v0, -1, v43
	v_pk_mov_b32 v[20:21], 0, 0
	v_and_or_b32 v0, v0, 64, v22
	v_cmp_lt_u64_e64 s[2:3], v[18:19], v[8:9]
	s_lshl_b64 s[40:41], s[46:47], 6
	s_lshl_b64 s[22:23], s[26:27], 6
	v_addc_co_u32_e32 v45, vcc, 0, v1, vcc
	s_lshl_b64 s[26:27], s[44:45], 6
	v_lshlrev_b32_e32 v47, 2, v0
	v_pk_mov_b32 v[24:25], v[20:21], v[20:21] op_sel:[0,1]
	v_pk_mov_b32 v[30:31], v[20:21], v[20:21] op_sel:[0,1]
	;; [unrolled: 1-line block ×7, first 2 shown]
	s_branch .LBB34_6
.LBB34_3:                               ;   in Loop: Header=BB34_6 Depth=1
	s_or_b64 exec, exec, s[36:37]
.LBB34_4:                               ;   in Loop: Header=BB34_6 Depth=1
	s_or_b64 exec, exec, s[14:15]
	s_waitcnt vmcnt(0)
	ds_bpermute_b32 v4, v47, v4
	ds_bpermute_b32 v5, v47, v5
	;; [unrolled: 1-line block ×4, first 2 shown]
.LBB34_5:                               ;   in Loop: Header=BB34_6 Depth=1
	s_waitcnt vmcnt(0) lgkmcnt(0)
	v_xor_b32_e32 v48, 0x80000000, v3
	v_cndmask_b32_e64 v3, v3, v48, s[12:13]
	v_cndmask_b32_e64 v2, v2, v2, s[12:13]
	v_xor_b32_e32 v48, 0x80000000, v7
	v_cndmask_b32_e64 v7, v7, v48, s[10:11]
	v_cndmask_b32_e64 v6, v6, v6, s[10:11]
	v_mfma_f64_16x16x4f64 v[48:55], v[0:1], v[4:5], 0
	s_add_u32 s34, s34, 4
	s_addc_u32 s35, s35, 0
	v_add_co_u32_e64 v34, s[14:15], s38, v34
	v_mfma_f64_16x16x4f64 v[56:63], v[2:3], v[6:7], 0
	s_nop 7
	s_nop 2
	v_add_f64 v[54:55], v[54:55], -v[62:63]
	v_pk_mov_b32 v[62:63], s[16:17], s[16:17] op_sel:[0,1]
	v_cmp_ge_i64_e32 vcc, s[34:35], v[62:63]
	v_mfma_f64_16x16x4f64 v[62:69], v[0:1], v[6:7], 0
	s_and_b64 vcc, exec, vcc
	v_add_f64 v[52:53], v[52:53], -v[60:61]
	v_add_f64 v[50:51], v[50:51], -v[58:59]
	v_add_f64 v[48:49], v[48:49], -v[56:57]
	v_add_f64 v[36:37], v[36:37], v[48:49]
	v_add_f64 v[32:33], v[32:33], v[50:51]
	;; [unrolled: 1-line block ×4, first 2 shown]
	v_mfma_f64_16x16x4f64 v[0:7], v[2:3], v[4:5], 0
	s_nop 7
	s_nop 2
	v_add_f64 v[0:1], v[62:63], v[0:1]
	v_add_f64 v[38:39], v[38:39], v[0:1]
	v_mov_b32_e32 v0, s39
	v_addc_co_u32_e64 v29, s[14:15], v29, v0, s[14:15]
	v_mov_b32_e32 v0, s41
	v_add_co_u32_e64 v40, s[14:15], s40, v40
	v_addc_co_u32_e64 v41, s[14:15], v41, v0, s[14:15]
	v_mov_b32_e32 v0, s23
	v_add_co_u32_e64 v42, s[14:15], s22, v42
	v_addc_co_u32_e64 v35, s[14:15], v35, v0, s[14:15]
	v_add_f64 v[6:7], v[68:69], v[6:7]
	v_add_f64 v[4:5], v[66:67], v[4:5]
	;; [unrolled: 1-line block ×3, first 2 shown]
	v_mov_b32_e32 v0, s27
	v_add_co_u32_e64 v44, s[14:15], s26, v44
	v_add_f64 v[30:31], v[30:31], v[2:3]
	v_add_f64 v[24:25], v[24:25], v[4:5]
	;; [unrolled: 1-line block ×3, first 2 shown]
	v_addc_co_u32_e64 v45, s[14:15], v45, v0, s[14:15]
	s_cbranch_vccnz .LBB34_28
.LBB34_6:                               ; =>This Inner Loop Header: Depth=1
	s_and_b64 vcc, exec, s[60:61]
	s_cbranch_vccz .LBB34_18
; %bb.7:                                ;   in Loop: Header=BB34_6 Depth=1
	v_pk_mov_b32 v[0:1], 0, 0
	s_mov_b64 s[14:15], 0
	v_pk_mov_b32 v[2:3], v[0:1], v[0:1] op_sel:[0,1]
	s_and_saveexec_b64 s[36:37], s[2:3]
	s_cbranch_execz .LBB34_11
; %bb.8:                                ;   in Loop: Header=BB34_6 Depth=1
	v_mov_b32_e32 v1, s35
	v_add_co_u32_e32 v0, vcc, s34, v10
	v_addc_co_u32_e32 v1, vcc, 0, v1, vcc
	v_pk_mov_b32 v[2:3], 0, 0
	v_cmp_gt_i64_e32 vcc, s[16:17], v[0:1]
	v_pk_mov_b32 v[0:1], v[2:3], v[2:3] op_sel:[0,1]
	s_and_saveexec_b64 s[42:43], vcc
	s_cbranch_execz .LBB34_10
; %bb.9:                                ;   in Loop: Header=BB34_6 Depth=1
	v_mov_b32_e32 v1, s25
	v_add_co_u32_e32 v0, vcc, s24, v42
	v_addc_co_u32_e32 v1, vcc, v35, v1, vcc
	global_load_dwordx4 v[0:3], v[0:1], off offset:-8
.LBB34_10:                              ;   in Loop: Header=BB34_6 Depth=1
	s_or_b64 exec, exec, s[42:43]
.LBB34_11:                              ;   in Loop: Header=BB34_6 Depth=1
	s_or_b64 exec, exec, s[36:37]
	s_waitcnt vmcnt(0)
	ds_bpermute_b32 v0, v47, v0
	ds_bpermute_b32 v1, v47, v1
	;; [unrolled: 1-line block ×4, first 2 shown]
	s_and_b64 vcc, exec, s[14:15]
	s_cbranch_vccnz .LBB34_19
.LBB34_12:                              ;   in Loop: Header=BB34_6 Depth=1
	s_and_b64 vcc, exec, s[62:63]
	s_cbranch_vccz .LBB34_24
.LBB34_13:                              ;   in Loop: Header=BB34_6 Depth=1
	v_pk_mov_b32 v[6:7], 0, 0
	s_mov_b64 s[14:15], 0
	v_pk_mov_b32 v[4:5], v[6:7], v[6:7] op_sel:[0,1]
	s_and_saveexec_b64 s[36:37], s[6:7]
	s_cbranch_execz .LBB34_17
; %bb.14:                               ;   in Loop: Header=BB34_6 Depth=1
	v_mov_b32_e32 v5, s35
	v_add_co_u32_e32 v4, vcc, s34, v28
	v_addc_co_u32_e32 v5, vcc, 0, v5, vcc
	v_pk_mov_b32 v[6:7], 0, 0
	v_cmp_gt_i64_e32 vcc, s[16:17], v[4:5]
	v_pk_mov_b32 v[4:5], v[6:7], v[6:7] op_sel:[0,1]
	s_and_saveexec_b64 s[42:43], vcc
	s_cbranch_execz .LBB34_16
; %bb.15:                               ;   in Loop: Header=BB34_6 Depth=1
	global_load_dwordx4 v[4:7], v[40:41], off offset:-8
.LBB34_16:                              ;   in Loop: Header=BB34_6 Depth=1
	s_or_b64 exec, exec, s[42:43]
.LBB34_17:                              ;   in Loop: Header=BB34_6 Depth=1
	s_or_b64 exec, exec, s[36:37]
	s_andn2_b64 vcc, exec, s[14:15]
	s_cbranch_vccnz .LBB34_5
	s_branch .LBB34_25
.LBB34_18:                              ;   in Loop: Header=BB34_6 Depth=1
                                        ; implicit-def: $vgpr2_vgpr3
	s_cbranch_execz .LBB34_12
.LBB34_19:                              ;   in Loop: Header=BB34_6 Depth=1
	s_waitcnt lgkmcnt(0)
	v_pk_mov_b32 v[2:3], 0, 0
	v_pk_mov_b32 v[0:1], v[2:3], v[2:3] op_sel:[0,1]
	s_and_saveexec_b64 s[14:15], s[4:5]
	s_cbranch_execz .LBB34_23
; %bb.20:                               ;   in Loop: Header=BB34_6 Depth=1
	v_mov_b32_e32 v1, s35
	v_add_co_u32_e32 v0, vcc, s34, v28
	v_addc_co_u32_e32 v1, vcc, 0, v1, vcc
	v_pk_mov_b32 v[2:3], 0, 0
	v_cmp_gt_i64_e32 vcc, s[16:17], v[0:1]
	v_pk_mov_b32 v[0:1], v[2:3], v[2:3] op_sel:[0,1]
	s_and_saveexec_b64 s[36:37], vcc
	s_cbranch_execz .LBB34_22
; %bb.21:                               ;   in Loop: Header=BB34_6 Depth=1
	v_mov_b32_e32 v1, s25
	v_add_co_u32_e32 v0, vcc, s24, v34
	v_addc_co_u32_e32 v1, vcc, v29, v1, vcc
	global_load_dwordx4 v[0:3], v[0:1], off offset:-8
.LBB34_22:                              ;   in Loop: Header=BB34_6 Depth=1
	s_or_b64 exec, exec, s[36:37]
.LBB34_23:                              ;   in Loop: Header=BB34_6 Depth=1
	s_or_b64 exec, exec, s[14:15]
	s_and_b64 vcc, exec, s[62:63]
	s_cbranch_vccnz .LBB34_13
.LBB34_24:                              ;   in Loop: Header=BB34_6 Depth=1
                                        ; implicit-def: $vgpr6_vgpr7
.LBB34_25:                              ;   in Loop: Header=BB34_6 Depth=1
	s_waitcnt vmcnt(0)
	v_pk_mov_b32 v[4:5], 0, 0
	v_pk_mov_b32 v[6:7], v[4:5], v[4:5] op_sel:[0,1]
	s_and_saveexec_b64 s[14:15], s[0:1]
	s_cbranch_execz .LBB34_4
; %bb.26:                               ;   in Loop: Header=BB34_6 Depth=1
	v_mov_b32_e32 v5, s35
	v_add_co_u32_e32 v4, vcc, s34, v10
	v_addc_co_u32_e32 v5, vcc, 0, v5, vcc
	v_pk_mov_b32 v[6:7], 0, 0
	v_cmp_gt_i64_e32 vcc, s[16:17], v[4:5]
	v_pk_mov_b32 v[4:5], v[6:7], v[6:7] op_sel:[0,1]
	s_and_saveexec_b64 s[36:37], vcc
	s_cbranch_execz .LBB34_3
; %bb.27:                               ;   in Loop: Header=BB34_6 Depth=1
	global_load_dwordx4 v[4:7], v[44:45], off offset:-8
	s_branch .LBB34_3
.LBB34_28:
	s_waitcnt lgkmcnt(0)
	s_mul_i32 s0, s8, s31
	s_mul_hi_u32 s1, s8, s30
	s_add_i32 s1, s1, s0
	s_mul_i32 s0, s8, s30
	s_lshl_b64 s[0:1], s[0:1], 4
	s_add_u32 s2, s54, s0
	s_addc_u32 s3, s55, s1
	s_lshl_b64 s[0:1], s[56:57], 4
	s_add_u32 s2, s2, s0
	s_addc_u32 s3, s3, s1
	v_mul_lo_u32 v2, v17, s28
	v_mul_lo_u32 v3, v16, s29
	v_mad_u64_u32 v[0:1], s[0:1], v16, s28, 0
	v_add3_u32 v1, v1, v3, v2
	v_mul_lo_u32 v4, v13, s58
	v_mul_lo_u32 v5, v12, s59
	v_mad_u64_u32 v[2:3], s[0:1], v12, s58, 0
	v_lshlrev_b64 v[0:1], 4, v[0:1]
	v_add3_u32 v3, v3, v5, v4
	v_mov_b32_e32 v4, s3
	v_add_co_u32_e32 v5, vcc, s2, v0
	v_addc_co_u32_e32 v4, vcc, v4, v1, vcc
	v_lshlrev_b64 v[0:1], 4, v[2:3]
	v_add_co_u32_e32 v6, vcc, v5, v0
	v_lshl_or_b32 v0, v46, 4, v18
	v_addc_co_u32_e32 v7, vcc, v4, v1, vcc
	v_mbcnt_hi_u32_b32 v1, -1, v43
	v_and_b32_e32 v0, 63, v0
	v_and_or_b32 v0, v1, 64, v0
	v_lshlrev_b32_e32 v12, 2, v0
	v_mad_u64_u32 v[0:1], s[0:1], v18, s28, 0
	v_mov_b32_e32 v2, v1
	v_mad_u64_u32 v[2:3], s[0:1], v18, s29, v[2:3]
	v_mov_b32_e32 v1, v2
	v_lshlrev_b64 v[4:5], 4, v[0:1]
	ds_bpermute_b32 v0, v12, v36
	ds_bpermute_b32 v1, v12, v37
	;; [unrolled: 1-line block ×4, first 2 shown]
	v_add_co_u32_e64 v6, s[0:1], v6, v4
	v_addc_co_u32_e64 v7, s[0:1], v7, v5, s[0:1]
	v_cmp_lt_u64_e32 vcc, v[18:19], v[14:15]
	v_cmp_lt_u64_e64 s[0:1], v[10:11], v[8:9]
	s_and_b64 s[0:1], vcc, s[0:1]
	s_and_saveexec_b64 s[2:3], s[0:1]
	s_cbranch_execz .LBB34_30
; %bb.29:
	v_mad_u64_u32 v[4:5], s[0:1], v10, s58, 0
	v_mov_b32_e32 v14, v5
	v_mad_u64_u32 v[14:15], s[0:1], v10, s59, v[14:15]
	v_mov_b32_e32 v5, v14
	v_lshlrev_b64 v[4:5], 4, v[4:5]
	v_add_co_u32_e64 v4, s[0:1], v6, v4
	v_addc_co_u32_e64 v5, s[0:1], v7, v5, s[0:1]
	global_load_dwordx4 v[14:17], v[4:5], off
	s_waitcnt lgkmcnt(0)
	v_mul_f64 v[18:19], s[20:21], v[2:3]
	v_mul_f64 v[2:3], s[18:19], v[2:3]
	v_fma_f64 v[18:19], s[18:19], v[0:1], -v[18:19]
	v_fmac_f64_e32 v[2:3], s[20:21], v[0:1]
	s_waitcnt vmcnt(0)
	v_mul_f64 v[0:1], s[52:53], v[16:17]
	v_mul_f64 v[16:17], s[50:51], v[16:17]
	v_fma_f64 v[0:1], s[50:51], v[14:15], -v[0:1]
	v_fmac_f64_e32 v[16:17], s[52:53], v[14:15]
	v_add_f64 v[0:1], v[18:19], v[0:1]
	v_add_f64 v[2:3], v[2:3], v[16:17]
	global_store_dwordx4 v[4:5], v[0:3], off
.LBB34_30:
	s_or_b64 exec, exec, s[2:3]
	s_waitcnt lgkmcnt(3)
	ds_bpermute_b32 v0, v12, v32
	s_waitcnt lgkmcnt(3)
	ds_bpermute_b32 v1, v12, v33
	;; [unrolled: 2-line block ×4, first 2 shown]
	v_or_b32_e32 v4, 4, v10
	v_mov_b32_e32 v5, v11
	v_cmp_lt_u64_e64 s[0:1], v[4:5], v[8:9]
	s_and_b64 s[0:1], vcc, s[0:1]
	s_and_saveexec_b64 s[2:3], s[0:1]
	s_cbranch_execz .LBB34_32
; %bb.31:
	v_mad_u64_u32 v[14:15], s[0:1], v4, s58, 0
	v_mov_b32_e32 v16, v15
	v_mad_u64_u32 v[4:5], s[0:1], v4, s59, v[16:17]
	v_mov_b32_e32 v15, v4
	v_lshlrev_b64 v[4:5], 4, v[14:15]
	v_add_co_u32_e64 v4, s[0:1], v6, v4
	v_addc_co_u32_e64 v5, s[0:1], v7, v5, s[0:1]
	global_load_dwordx4 v[14:17], v[4:5], off
	s_waitcnt lgkmcnt(0)
	v_mul_f64 v[18:19], s[20:21], v[2:3]
	v_mul_f64 v[2:3], s[18:19], v[2:3]
	v_fma_f64 v[18:19], s[18:19], v[0:1], -v[18:19]
	v_fmac_f64_e32 v[2:3], s[20:21], v[0:1]
	s_waitcnt vmcnt(0)
	v_mul_f64 v[0:1], s[52:53], v[16:17]
	v_mul_f64 v[16:17], s[50:51], v[16:17]
	v_fma_f64 v[0:1], s[50:51], v[14:15], -v[0:1]
	v_fmac_f64_e32 v[16:17], s[52:53], v[14:15]
	v_add_f64 v[0:1], v[18:19], v[0:1]
	v_add_f64 v[2:3], v[2:3], v[16:17]
	global_store_dwordx4 v[4:5], v[0:3], off
.LBB34_32:
	s_or_b64 exec, exec, s[2:3]
	s_waitcnt lgkmcnt(3)
	ds_bpermute_b32 v0, v12, v26
	s_waitcnt lgkmcnt(3)
	ds_bpermute_b32 v1, v12, v27
	;; [unrolled: 2-line block ×4, first 2 shown]
	v_or_b32_e32 v4, 8, v10
	v_mov_b32_e32 v5, v11
	v_cmp_lt_u64_e64 s[0:1], v[4:5], v[8:9]
	s_and_b64 s[0:1], vcc, s[0:1]
	s_and_saveexec_b64 s[2:3], s[0:1]
	s_cbranch_execz .LBB34_34
; %bb.33:
	v_mad_u64_u32 v[14:15], s[0:1], v4, s58, 0
	v_mov_b32_e32 v16, v15
	v_mad_u64_u32 v[4:5], s[0:1], v4, s59, v[16:17]
	v_mov_b32_e32 v15, v4
	v_lshlrev_b64 v[4:5], 4, v[14:15]
	v_add_co_u32_e64 v4, s[0:1], v6, v4
	v_addc_co_u32_e64 v5, s[0:1], v7, v5, s[0:1]
	global_load_dwordx4 v[14:17], v[4:5], off
	s_waitcnt lgkmcnt(0)
	v_mul_f64 v[18:19], s[20:21], v[2:3]
	v_mul_f64 v[2:3], s[18:19], v[2:3]
	v_fma_f64 v[18:19], s[18:19], v[0:1], -v[18:19]
	v_fmac_f64_e32 v[2:3], s[20:21], v[0:1]
	s_waitcnt vmcnt(0)
	v_mul_f64 v[0:1], s[52:53], v[16:17]
	v_mul_f64 v[16:17], s[50:51], v[16:17]
	v_fma_f64 v[0:1], s[50:51], v[14:15], -v[0:1]
	v_fmac_f64_e32 v[16:17], s[52:53], v[14:15]
	v_add_f64 v[0:1], v[18:19], v[0:1]
	v_add_f64 v[2:3], v[2:3], v[16:17]
	global_store_dwordx4 v[4:5], v[0:3], off
.LBB34_34:
	s_or_b64 exec, exec, s[2:3]
	s_waitcnt lgkmcnt(3)
	ds_bpermute_b32 v0, v12, v22
	s_waitcnt lgkmcnt(3)
	ds_bpermute_b32 v1, v12, v23
	;; [unrolled: 2-line block ×4, first 2 shown]
	v_or_b32_e32 v10, 12, v10
	v_cmp_lt_u64_e64 s[0:1], v[10:11], v[8:9]
	s_and_b64 s[0:1], vcc, s[0:1]
	s_and_b64 exec, exec, s[0:1]
	s_cbranch_execz .LBB34_36
; %bb.35:
	v_mad_u64_u32 v[4:5], s[0:1], v10, s58, 0
	v_mov_b32_e32 v8, v5
	v_mad_u64_u32 v[8:9], s[0:1], v10, s59, v[8:9]
	v_mov_b32_e32 v5, v8
	v_lshlrev_b64 v[4:5], 4, v[4:5]
	v_add_co_u32_e32 v8, vcc, v6, v4
	v_addc_co_u32_e32 v9, vcc, v7, v5, vcc
	global_load_dwordx4 v[4:7], v[8:9], off
	s_waitcnt lgkmcnt(0)
	v_mul_f64 v[10:11], s[20:21], v[2:3]
	v_mul_f64 v[2:3], s[18:19], v[2:3]
	v_fma_f64 v[10:11], s[18:19], v[0:1], -v[10:11]
	v_fmac_f64_e32 v[2:3], s[20:21], v[0:1]
	s_waitcnt vmcnt(0)
	v_mul_f64 v[0:1], s[52:53], v[6:7]
	v_mul_f64 v[6:7], s[50:51], v[6:7]
	v_fma_f64 v[0:1], s[50:51], v[4:5], -v[0:1]
	v_fmac_f64_e32 v[6:7], s[52:53], v[4:5]
	v_add_f64 v[0:1], v[10:11], v[0:1]
	v_add_f64 v[2:3], v[2:3], v[6:7]
	global_store_dwordx4 v[8:9], v[0:3], off
.LBB34_36:
	s_endpgm
	.section	.rodata,"a",@progbits
	.p2align	6, 0x0
	.amdhsa_kernel _ZN9rocsolver6v33100L16mfma_gemm_kernelI19rocblas_complex_numIdElS3_PS3_S4_S4_EEv18rocblas_operation_S5_T0_S6_S6_T1_T2_lS6_S6_lT3_lS6_S6_lS7_T4_lS6_S6_l
		.amdhsa_group_segment_fixed_size 0
		.amdhsa_private_segment_fixed_size 0
		.amdhsa_kernarg_size 440
		.amdhsa_user_sgpr_count 6
		.amdhsa_user_sgpr_private_segment_buffer 1
		.amdhsa_user_sgpr_dispatch_ptr 0
		.amdhsa_user_sgpr_queue_ptr 0
		.amdhsa_user_sgpr_kernarg_segment_ptr 1
		.amdhsa_user_sgpr_dispatch_id 0
		.amdhsa_user_sgpr_flat_scratch_init 0
		.amdhsa_user_sgpr_kernarg_preload_length 0
		.amdhsa_user_sgpr_kernarg_preload_offset 0
		.amdhsa_user_sgpr_private_segment_size 0
		.amdhsa_uses_dynamic_stack 0
		.amdhsa_system_sgpr_private_segment_wavefront_offset 0
		.amdhsa_system_sgpr_workgroup_id_x 1
		.amdhsa_system_sgpr_workgroup_id_y 1
		.amdhsa_system_sgpr_workgroup_id_z 1
		.amdhsa_system_sgpr_workgroup_info 0
		.amdhsa_system_vgpr_workitem_id 1
		.amdhsa_next_free_vgpr 70
		.amdhsa_next_free_sgpr 66
		.amdhsa_accum_offset 72
		.amdhsa_reserve_vcc 1
		.amdhsa_reserve_flat_scratch 0
		.amdhsa_float_round_mode_32 0
		.amdhsa_float_round_mode_16_64 0
		.amdhsa_float_denorm_mode_32 3
		.amdhsa_float_denorm_mode_16_64 3
		.amdhsa_dx10_clamp 1
		.amdhsa_ieee_mode 1
		.amdhsa_fp16_overflow 0
		.amdhsa_tg_split 0
		.amdhsa_exception_fp_ieee_invalid_op 0
		.amdhsa_exception_fp_denorm_src 0
		.amdhsa_exception_fp_ieee_div_zero 0
		.amdhsa_exception_fp_ieee_overflow 0
		.amdhsa_exception_fp_ieee_underflow 0
		.amdhsa_exception_fp_ieee_inexact 0
		.amdhsa_exception_int_div_zero 0
	.end_amdhsa_kernel
	.section	.text._ZN9rocsolver6v33100L16mfma_gemm_kernelI19rocblas_complex_numIdElS3_PS3_S4_S4_EEv18rocblas_operation_S5_T0_S6_S6_T1_T2_lS6_S6_lT3_lS6_S6_lS7_T4_lS6_S6_l,"axG",@progbits,_ZN9rocsolver6v33100L16mfma_gemm_kernelI19rocblas_complex_numIdElS3_PS3_S4_S4_EEv18rocblas_operation_S5_T0_S6_S6_T1_T2_lS6_S6_lT3_lS6_S6_lS7_T4_lS6_S6_l,comdat
.Lfunc_end34:
	.size	_ZN9rocsolver6v33100L16mfma_gemm_kernelI19rocblas_complex_numIdElS3_PS3_S4_S4_EEv18rocblas_operation_S5_T0_S6_S6_T1_T2_lS6_S6_lT3_lS6_S6_lS7_T4_lS6_S6_l, .Lfunc_end34-_ZN9rocsolver6v33100L16mfma_gemm_kernelI19rocblas_complex_numIdElS3_PS3_S4_S4_EEv18rocblas_operation_S5_T0_S6_S6_T1_T2_lS6_S6_lT3_lS6_S6_lS7_T4_lS6_S6_l
                                        ; -- End function
	.section	.AMDGPU.csdata,"",@progbits
; Kernel info:
; codeLenInByte = 3024
; NumSgprs: 70
; NumVgprs: 70
; NumAgprs: 0
; TotalNumVgprs: 70
; ScratchSize: 0
; MemoryBound: 1
; FloatMode: 240
; IeeeMode: 1
; LDSByteSize: 0 bytes/workgroup (compile time only)
; SGPRBlocks: 8
; VGPRBlocks: 8
; NumSGPRsForWavesPerEU: 70
; NumVGPRsForWavesPerEU: 70
; AccumOffset: 72
; Occupancy: 7
; WaveLimiterHint : 0
; COMPUTE_PGM_RSRC2:SCRATCH_EN: 0
; COMPUTE_PGM_RSRC2:USER_SGPR: 6
; COMPUTE_PGM_RSRC2:TRAP_HANDLER: 0
; COMPUTE_PGM_RSRC2:TGID_X_EN: 1
; COMPUTE_PGM_RSRC2:TGID_Y_EN: 1
; COMPUTE_PGM_RSRC2:TGID_Z_EN: 1
; COMPUTE_PGM_RSRC2:TIDIG_COMP_CNT: 1
; COMPUTE_PGM_RSRC3_GFX90A:ACCUM_OFFSET: 17
; COMPUTE_PGM_RSRC3_GFX90A:TG_SPLIT: 0
	.section	.text._ZN9rocsolver6v33100L11gemm_kernelI19rocblas_complex_numIdElPKS3_PS3_S6_S6_EEvT0_S7_S7_T1_bT2_lS7_S7_lbT3_lS7_S7_lS8_T4_lS7_S7_l,"axG",@progbits,_ZN9rocsolver6v33100L11gemm_kernelI19rocblas_complex_numIdElPKS3_PS3_S6_S6_EEvT0_S7_S7_T1_bT2_lS7_S7_lbT3_lS7_S7_lS8_T4_lS7_S7_l,comdat
	.globl	_ZN9rocsolver6v33100L11gemm_kernelI19rocblas_complex_numIdElPKS3_PS3_S6_S6_EEvT0_S7_S7_T1_bT2_lS7_S7_lbT3_lS7_S7_lS8_T4_lS7_S7_l ; -- Begin function _ZN9rocsolver6v33100L11gemm_kernelI19rocblas_complex_numIdElPKS3_PS3_S6_S6_EEvT0_S7_S7_T1_bT2_lS7_S7_lbT3_lS7_S7_lS8_T4_lS7_S7_l
	.p2align	8
	.type	_ZN9rocsolver6v33100L11gemm_kernelI19rocblas_complex_numIdElPKS3_PS3_S6_S6_EEvT0_S7_S7_T1_bT2_lS7_S7_lbT3_lS7_S7_lS8_T4_lS7_S7_l,@function
_ZN9rocsolver6v33100L11gemm_kernelI19rocblas_complex_numIdElPKS3_PS3_S6_S6_EEvT0_S7_S7_T1_bT2_lS7_S7_lbT3_lS7_S7_lS8_T4_lS7_S7_l: ; @_ZN9rocsolver6v33100L11gemm_kernelI19rocblas_complex_numIdElPKS3_PS3_S6_S6_EEvT0_S7_S7_T1_bT2_lS7_S7_lbT3_lS7_S7_lS8_T4_lS7_S7_l
; %bb.0:
	s_load_dword s0, s[4:5], 0xbc
	s_load_dwordx8 s[24:31], s[4:5], 0x0
	v_and_b32_e32 v4, 0x3ff, v0
	v_mov_b32_e32 v5, 0
	v_mov_b32_e32 v1, s6
	s_waitcnt lgkmcnt(0)
	s_lshr_b32 s2, s0, 16
	s_and_b32 s0, s0, 0xffff
	v_mad_u64_u32 v[2:3], s[0:1], s0, v1, v[4:5]
	v_bfe_u32 v4, v0, 10, 10
	v_mov_b32_e32 v0, s7
	v_mad_u64_u32 v[0:1], s[0:1], s2, v0, v[4:5]
	v_cmp_gt_i64_e32 vcc, s[24:25], v[2:3]
	v_cmp_gt_i64_e64 s[0:1], s[26:27], v[0:1]
	s_and_b64 s[0:1], vcc, s[0:1]
	s_and_saveexec_b64 s[2:3], s[0:1]
	s_cbranch_execz .LBB35_5
; %bb.1:
	s_load_dwordx16 s[12:27], s[4:5], 0x58
	v_cmp_lt_i64_e64 s[0:1], s[28:29], 1
	v_pk_mov_b32 v[4:5], 0, 0
	s_and_b64 vcc, exec, s[0:1]
	v_pk_mov_b32 v[6:7], v[4:5], v[4:5] op_sel:[0,1]
	s_cbranch_vccnz .LBB35_4
; %bb.2:
	s_load_dword s0, s[4:5], 0x20
	s_load_dword s1, s[4:5], 0x50
	s_load_dwordx2 s[2:3], s[4:5], 0x48
	s_load_dwordx8 s[36:43], s[4:5], 0x28
	s_waitcnt lgkmcnt(0)
	s_bitcmp1_b32 s0, 0
	s_cselect_b64 vcc, -1, 0
	s_bitcmp1_b32 s1, 0
	v_mad_u64_u32 v[4:5], s[6:7], s40, v2, 0
	s_mul_i32 s3, s3, s8
	s_mul_hi_u32 s6, s2, s8
	s_cselect_b64 s[0:1], -1, 0
	s_add_i32 s3, s6, s3
	s_mul_i32 s2, s2, s8
	s_lshl_b64 s[2:3], s[2:3], 4
	s_lshl_b64 s[6:7], s[38:39], 4
	s_add_u32 s6, s36, s6
	v_mul_lo_u32 v6, s41, v2
	v_mul_lo_u32 v7, s40, v3
	s_addc_u32 s7, s37, s7
	v_add3_u32 v5, v5, v7, v6
	s_add_u32 s2, s6, s2
	v_lshlrev_b64 v[4:5], 4, v[4:5]
	s_addc_u32 s3, s7, s3
	v_mov_b32_e32 v6, s3
	v_add_co_u32_e64 v4, s[2:3], s2, v4
	v_addc_co_u32_e64 v5, s[2:3], v6, v5, s[2:3]
	v_add_co_u32_e64 v8, s[2:3], 8, v4
	v_addc_co_u32_e64 v9, s[2:3], 0, v5, s[2:3]
	v_mad_u64_u32 v[4:5], s[2:3], s18, v0, 0
	s_mul_i32 s2, s21, s8
	s_mul_hi_u32 s3, s20, s8
	s_add_i32 s3, s3, s2
	s_mul_i32 s2, s20, s8
	s_lshl_b64 s[6:7], s[42:43], 4
	s_lshl_b64 s[2:3], s[2:3], 4
	;; [unrolled: 1-line block ×3, first 2 shown]
	s_add_u32 s9, s12, s10
	v_mul_lo_u32 v6, s19, v0
	v_mul_lo_u32 v7, s18, v1
	s_addc_u32 s10, s13, s11
	v_add3_u32 v5, v5, v7, v6
	s_add_u32 s2, s9, s2
	v_lshlrev_b64 v[4:5], 4, v[4:5]
	s_addc_u32 s3, s10, s3
	v_mov_b32_e32 v6, s3
	v_add_co_u32_e64 v4, s[2:3], s2, v4
	v_addc_co_u32_e64 v5, s[2:3], v6, v5, s[2:3]
	v_add_co_u32_e64 v10, s[2:3], 8, v4
	v_addc_co_u32_e64 v11, s[2:3], 0, v5, s[2:3]
	s_lshl_b64 s[10:11], s[16:17], 4
	v_pk_mov_b32 v[4:5], 0, 0
	v_mov_b32_e32 v12, s7
	v_mov_b32_e32 v13, s11
	v_pk_mov_b32 v[6:7], v[4:5], v[4:5] op_sel:[0,1]
.LBB35_3:                               ; =>This Inner Loop Header: Depth=1
	global_load_dwordx4 v[14:17], v[8:9], off offset:-8
	global_load_dwordx4 v[18:21], v[10:11], off offset:-8
	v_add_co_u32_e64 v8, s[2:3], s6, v8
	s_add_u32 s28, s28, -1
	v_addc_co_u32_e64 v9, s[2:3], v9, v12, s[2:3]
	v_add_co_u32_e64 v10, s[2:3], s10, v10
	s_addc_u32 s29, s29, -1
	v_addc_co_u32_e64 v11, s[2:3], v11, v13, s[2:3]
	s_cmp_eq_u64 s[28:29], 0
	s_waitcnt vmcnt(1)
	v_xor_b32_e32 v22, 0x80000000, v17
	s_waitcnt vmcnt(0)
	v_xor_b32_e32 v23, 0x80000000, v21
	v_cndmask_b32_e32 v17, v17, v22, vcc
	v_cndmask_b32_e64 v21, v21, v23, s[0:1]
	v_mul_f64 v[22:23], v[16:17], v[20:21]
	v_mul_f64 v[16:17], v[16:17], v[18:19]
	v_fma_f64 v[18:19], v[14:15], v[18:19], -v[22:23]
	v_fmac_f64_e32 v[16:17], v[14:15], v[20:21]
	v_add_f64 v[6:7], v[6:7], v[18:19]
	v_add_f64 v[4:5], v[4:5], v[16:17]
	s_cbranch_scc0 .LBB35_3
.LBB35_4:
	s_waitcnt lgkmcnt(0)
	s_load_dwordx4 s[12:15], s[30:31], 0x0
	s_load_dwordx4 s[0:3], s[22:23], 0x0
                                        ; kill: killed $sgpr22_sgpr23
                                        ; kill: killed $sgpr30_sgpr31
	s_load_dwordx2 s[6:7], s[4:5], 0xa8
	s_load_dwordx4 s[16:19], s[4:5], 0x98
	s_waitcnt lgkmcnt(0)
	v_mul_f64 v[10:11], s[14:15], v[4:5]
	v_mul_f64 v[4:5], s[12:13], v[4:5]
	v_fma_f64 v[10:11], s[12:13], v[6:7], -v[10:11]
	s_mul_i32 s5, s8, s7
	s_mul_hi_u32 s7, s8, s6
	s_mul_i32 s4, s8, s6
	s_add_i32 s5, s7, s5
	s_lshl_b64 s[4:5], s[4:5], 4
	s_add_u32 s6, s24, s4
	s_addc_u32 s7, s25, s5
	s_lshl_b64 s[4:5], s[26:27], 4
	s_add_u32 s6, s6, s4
	s_addc_u32 s7, s7, s5
	v_mul_lo_u32 v8, v3, s16
	v_mul_lo_u32 v9, v2, s17
	v_mad_u64_u32 v[2:3], s[4:5], v2, s16, 0
	v_add3_u32 v3, v3, v9, v8
	v_mul_lo_u32 v8, v1, s18
	v_mul_lo_u32 v9, v0, s19
	v_mad_u64_u32 v[0:1], s[4:5], v0, s18, 0
	v_lshlrev_b64 v[2:3], 4, v[2:3]
	v_add3_u32 v1, v1, v9, v8
	v_mov_b32_e32 v8, s7
	v_add_co_u32_e32 v2, vcc, s6, v2
	v_addc_co_u32_e32 v3, vcc, v8, v3, vcc
	v_lshlrev_b64 v[0:1], 4, v[0:1]
	v_add_co_u32_e32 v8, vcc, v2, v0
	v_addc_co_u32_e32 v9, vcc, v3, v1, vcc
	global_load_dwordx4 v[0:3], v[8:9], off
	v_fmac_f64_e32 v[4:5], s[14:15], v[6:7]
	s_waitcnt vmcnt(0)
	v_mul_f64 v[6:7], s[2:3], v[2:3]
	v_mul_f64 v[2:3], s[0:1], v[2:3]
	v_fma_f64 v[6:7], s[0:1], v[0:1], -v[6:7]
	v_fmac_f64_e32 v[2:3], s[2:3], v[0:1]
	v_add_f64 v[0:1], v[10:11], v[6:7]
	v_add_f64 v[2:3], v[4:5], v[2:3]
	global_store_dwordx4 v[8:9], v[0:3], off
.LBB35_5:
	s_endpgm
	.section	.rodata,"a",@progbits
	.p2align	6, 0x0
	.amdhsa_kernel _ZN9rocsolver6v33100L11gemm_kernelI19rocblas_complex_numIdElPKS3_PS3_S6_S6_EEvT0_S7_S7_T1_bT2_lS7_S7_lbT3_lS7_S7_lS8_T4_lS7_S7_l
		.amdhsa_group_segment_fixed_size 0
		.amdhsa_private_segment_fixed_size 0
		.amdhsa_kernarg_size 432
		.amdhsa_user_sgpr_count 6
		.amdhsa_user_sgpr_private_segment_buffer 1
		.amdhsa_user_sgpr_dispatch_ptr 0
		.amdhsa_user_sgpr_queue_ptr 0
		.amdhsa_user_sgpr_kernarg_segment_ptr 1
		.amdhsa_user_sgpr_dispatch_id 0
		.amdhsa_user_sgpr_flat_scratch_init 0
		.amdhsa_user_sgpr_kernarg_preload_length 0
		.amdhsa_user_sgpr_kernarg_preload_offset 0
		.amdhsa_user_sgpr_private_segment_size 0
		.amdhsa_uses_dynamic_stack 0
		.amdhsa_system_sgpr_private_segment_wavefront_offset 0
		.amdhsa_system_sgpr_workgroup_id_x 1
		.amdhsa_system_sgpr_workgroup_id_y 1
		.amdhsa_system_sgpr_workgroup_id_z 1
		.amdhsa_system_sgpr_workgroup_info 0
		.amdhsa_system_vgpr_workitem_id 1
		.amdhsa_next_free_vgpr 24
		.amdhsa_next_free_sgpr 44
		.amdhsa_accum_offset 24
		.amdhsa_reserve_vcc 1
		.amdhsa_reserve_flat_scratch 0
		.amdhsa_float_round_mode_32 0
		.amdhsa_float_round_mode_16_64 0
		.amdhsa_float_denorm_mode_32 3
		.amdhsa_float_denorm_mode_16_64 3
		.amdhsa_dx10_clamp 1
		.amdhsa_ieee_mode 1
		.amdhsa_fp16_overflow 0
		.amdhsa_tg_split 0
		.amdhsa_exception_fp_ieee_invalid_op 0
		.amdhsa_exception_fp_denorm_src 0
		.amdhsa_exception_fp_ieee_div_zero 0
		.amdhsa_exception_fp_ieee_overflow 0
		.amdhsa_exception_fp_ieee_underflow 0
		.amdhsa_exception_fp_ieee_inexact 0
		.amdhsa_exception_int_div_zero 0
	.end_amdhsa_kernel
	.section	.text._ZN9rocsolver6v33100L11gemm_kernelI19rocblas_complex_numIdElPKS3_PS3_S6_S6_EEvT0_S7_S7_T1_bT2_lS7_S7_lbT3_lS7_S7_lS8_T4_lS7_S7_l,"axG",@progbits,_ZN9rocsolver6v33100L11gemm_kernelI19rocblas_complex_numIdElPKS3_PS3_S6_S6_EEvT0_S7_S7_T1_bT2_lS7_S7_lbT3_lS7_S7_lS8_T4_lS7_S7_l,comdat
.Lfunc_end35:
	.size	_ZN9rocsolver6v33100L11gemm_kernelI19rocblas_complex_numIdElPKS3_PS3_S6_S6_EEvT0_S7_S7_T1_bT2_lS7_S7_lbT3_lS7_S7_lS8_T4_lS7_S7_l, .Lfunc_end35-_ZN9rocsolver6v33100L11gemm_kernelI19rocblas_complex_numIdElPKS3_PS3_S6_S6_EEvT0_S7_S7_T1_bT2_lS7_S7_lbT3_lS7_S7_lS8_T4_lS7_S7_l
                                        ; -- End function
	.section	.AMDGPU.csdata,"",@progbits
; Kernel info:
; codeLenInByte = 876
; NumSgprs: 48
; NumVgprs: 24
; NumAgprs: 0
; TotalNumVgprs: 24
; ScratchSize: 0
; MemoryBound: 0
; FloatMode: 240
; IeeeMode: 1
; LDSByteSize: 0 bytes/workgroup (compile time only)
; SGPRBlocks: 5
; VGPRBlocks: 2
; NumSGPRsForWavesPerEU: 48
; NumVGPRsForWavesPerEU: 24
; AccumOffset: 24
; Occupancy: 8
; WaveLimiterHint : 0
; COMPUTE_PGM_RSRC2:SCRATCH_EN: 0
; COMPUTE_PGM_RSRC2:USER_SGPR: 6
; COMPUTE_PGM_RSRC2:TRAP_HANDLER: 0
; COMPUTE_PGM_RSRC2:TGID_X_EN: 1
; COMPUTE_PGM_RSRC2:TGID_Y_EN: 1
; COMPUTE_PGM_RSRC2:TGID_Z_EN: 1
; COMPUTE_PGM_RSRC2:TIDIG_COMP_CNT: 1
; COMPUTE_PGM_RSRC3_GFX90A:ACCUM_OFFSET: 5
; COMPUTE_PGM_RSRC3_GFX90A:TG_SPLIT: 0
	.section	.text._ZN9rocsolver6v33100L11gemm_kernelI19rocblas_complex_numIdElS3_PS3_S4_S4_EEvT0_S5_S5_T1_bT2_lS5_S5_lbT3_lS5_S5_lS6_T4_lS5_S5_l,"axG",@progbits,_ZN9rocsolver6v33100L11gemm_kernelI19rocblas_complex_numIdElS3_PS3_S4_S4_EEvT0_S5_S5_T1_bT2_lS5_S5_lbT3_lS5_S5_lS6_T4_lS5_S5_l,comdat
	.globl	_ZN9rocsolver6v33100L11gemm_kernelI19rocblas_complex_numIdElS3_PS3_S4_S4_EEvT0_S5_S5_T1_bT2_lS5_S5_lbT3_lS5_S5_lS6_T4_lS5_S5_l ; -- Begin function _ZN9rocsolver6v33100L11gemm_kernelI19rocblas_complex_numIdElS3_PS3_S4_S4_EEvT0_S5_S5_T1_bT2_lS5_S5_lbT3_lS5_S5_lS6_T4_lS5_S5_l
	.p2align	8
	.type	_ZN9rocsolver6v33100L11gemm_kernelI19rocblas_complex_numIdElS3_PS3_S4_S4_EEvT0_S5_S5_T1_bT2_lS5_S5_lbT3_lS5_S5_lS6_T4_lS5_S5_l,@function
_ZN9rocsolver6v33100L11gemm_kernelI19rocblas_complex_numIdElS3_PS3_S4_S4_EEvT0_S5_S5_T1_bT2_lS5_S5_lbT3_lS5_S5_lS6_T4_lS5_S5_l: ; @_ZN9rocsolver6v33100L11gemm_kernelI19rocblas_complex_numIdElS3_PS3_S4_S4_EEvT0_S5_S5_T1_bT2_lS5_S5_lbT3_lS5_S5_lS6_T4_lS5_S5_l
; %bb.0:
	s_load_dword s0, s[4:5], 0xcc
	s_load_dwordx8 s[24:31], s[4:5], 0x0
	v_and_b32_e32 v4, 0x3ff, v0
	v_mov_b32_e32 v5, 0
	v_mov_b32_e32 v1, s6
	s_waitcnt lgkmcnt(0)
	s_lshr_b32 s2, s0, 16
	s_and_b32 s0, s0, 0xffff
	v_mad_u64_u32 v[2:3], s[0:1], s0, v1, v[4:5]
	v_bfe_u32 v4, v0, 10, 10
	v_mov_b32_e32 v0, s7
	v_mad_u64_u32 v[0:1], s[0:1], s2, v0, v[4:5]
	v_cmp_gt_i64_e32 vcc, s[24:25], v[2:3]
	v_cmp_gt_i64_e64 s[0:1], s[26:27], v[0:1]
	s_and_b64 s[0:1], vcc, s[0:1]
	s_and_saveexec_b64 s[2:3], s[0:1]
	s_cbranch_execz .LBB36_5
; %bb.1:
	s_load_dwordx2 s[6:7], s[4:5], 0x20
	s_load_dwordx16 s[12:27], s[4:5], 0x60
	v_cmp_lt_i64_e64 s[0:1], s[28:29], 1
	v_pk_mov_b32 v[4:5], 0, 0
	s_and_b64 vcc, exec, s[0:1]
	v_pk_mov_b32 v[6:7], v[4:5], v[4:5] op_sel:[0,1]
	s_cbranch_vccnz .LBB36_4
; %bb.2:
	s_load_dword s0, s[4:5], 0x28
	s_load_dword s1, s[4:5], 0x58
	s_load_dwordx2 s[2:3], s[4:5], 0x50
	s_load_dwordx8 s[36:43], s[4:5], 0x30
	s_waitcnt lgkmcnt(0)
	s_bitcmp1_b32 s0, 0
	s_cselect_b64 vcc, -1, 0
	s_bitcmp1_b32 s1, 0
	s_mul_i32 s3, s3, s8
	s_mul_hi_u32 s9, s2, s8
	s_cselect_b64 s[0:1], -1, 0
	v_mad_u64_u32 v[4:5], s[10:11], s40, v2, 0
	s_add_i32 s3, s9, s3
	s_mul_i32 s2, s2, s8
	s_lshl_b64 s[2:3], s[2:3], 4
	s_lshl_b64 s[10:11], s[38:39], 4
	s_add_u32 s9, s36, s10
	v_mul_lo_u32 v6, s41, v2
	v_mul_lo_u32 v7, s40, v3
	s_addc_u32 s10, s37, s11
	v_add3_u32 v5, v5, v7, v6
	s_add_u32 s2, s9, s2
	v_lshlrev_b64 v[4:5], 4, v[4:5]
	s_addc_u32 s3, s10, s3
	v_mov_b32_e32 v6, s3
	v_add_co_u32_e64 v4, s[2:3], s2, v4
	v_addc_co_u32_e64 v5, s[2:3], v6, v5, s[2:3]
	v_add_co_u32_e64 v8, s[2:3], 8, v4
	v_addc_co_u32_e64 v9, s[2:3], 0, v5, s[2:3]
	v_mad_u64_u32 v[4:5], s[2:3], s18, v0, 0
	s_mul_i32 s2, s21, s8
	s_mul_hi_u32 s3, s20, s8
	s_add_i32 s3, s3, s2
	s_mul_i32 s2, s20, s8
	s_lshl_b64 s[10:11], s[42:43], 4
	s_lshl_b64 s[2:3], s[2:3], 4
	;; [unrolled: 1-line block ×3, first 2 shown]
	s_add_u32 s9, s12, s14
	v_mul_lo_u32 v6, s19, v0
	v_mul_lo_u32 v7, s18, v1
	s_addc_u32 s12, s13, s15
	v_add3_u32 v5, v5, v7, v6
	s_add_u32 s2, s9, s2
	v_lshlrev_b64 v[4:5], 4, v[4:5]
	s_addc_u32 s3, s12, s3
	v_mov_b32_e32 v6, s3
	v_add_co_u32_e64 v4, s[2:3], s2, v4
	v_addc_co_u32_e64 v5, s[2:3], v6, v5, s[2:3]
	v_add_co_u32_e64 v10, s[2:3], 8, v4
	v_addc_co_u32_e64 v11, s[2:3], 0, v5, s[2:3]
	s_lshl_b64 s[12:13], s[16:17], 4
	v_pk_mov_b32 v[4:5], 0, 0
	v_mov_b32_e32 v12, s11
	v_mov_b32_e32 v13, s13
	v_pk_mov_b32 v[6:7], v[4:5], v[4:5] op_sel:[0,1]
.LBB36_3:                               ; =>This Inner Loop Header: Depth=1
	global_load_dwordx4 v[14:17], v[8:9], off offset:-8
	global_load_dwordx4 v[18:21], v[10:11], off offset:-8
	v_add_co_u32_e64 v8, s[2:3], s10, v8
	s_add_u32 s28, s28, -1
	v_addc_co_u32_e64 v9, s[2:3], v9, v12, s[2:3]
	v_add_co_u32_e64 v10, s[2:3], s12, v10
	s_addc_u32 s29, s29, -1
	v_addc_co_u32_e64 v11, s[2:3], v11, v13, s[2:3]
	s_cmp_eq_u64 s[28:29], 0
	s_waitcnt vmcnt(1)
	v_xor_b32_e32 v22, 0x80000000, v17
	s_waitcnt vmcnt(0)
	v_xor_b32_e32 v23, 0x80000000, v21
	v_cndmask_b32_e32 v17, v17, v22, vcc
	v_cndmask_b32_e64 v21, v21, v23, s[0:1]
	v_mul_f64 v[22:23], v[16:17], v[20:21]
	v_mul_f64 v[16:17], v[16:17], v[18:19]
	v_fma_f64 v[18:19], v[14:15], v[18:19], -v[22:23]
	v_fmac_f64_e32 v[16:17], v[14:15], v[20:21]
	v_add_f64 v[6:7], v[6:7], v[18:19]
	v_add_f64 v[4:5], v[4:5], v[16:17]
	s_cbranch_scc0 .LBB36_3
.LBB36_4:
	s_waitcnt lgkmcnt(0)
	s_load_dwordx8 s[12:19], s[4:5], 0xa0
	v_mul_f64 v[10:11], s[6:7], v[4:5]
	v_mul_f64 v[4:5], s[30:31], v[4:5]
	v_fma_f64 v[10:11], s[30:31], v[6:7], -v[10:11]
	v_fmac_f64_e32 v[4:5], s[6:7], v[6:7]
	s_waitcnt lgkmcnt(0)
	s_mul_i32 s1, s8, s19
	s_mul_hi_u32 s2, s8, s18
	s_mul_i32 s0, s8, s18
	s_add_i32 s1, s2, s1
	s_lshl_b64 s[0:1], s[0:1], 4
	s_add_u32 s2, s26, s0
	s_addc_u32 s3, s27, s1
	s_lshl_b64 s[0:1], s[12:13], 4
	s_add_u32 s2, s2, s0
	v_mul_lo_u32 v8, v3, s14
	s_addc_u32 s3, s3, s1
	v_mul_lo_u32 v9, v2, s15
	v_mad_u64_u32 v[2:3], s[0:1], v2, s14, 0
	v_add3_u32 v3, v3, v9, v8
	v_mul_lo_u32 v8, v1, s16
	v_mul_lo_u32 v9, v0, s17
	v_mad_u64_u32 v[0:1], s[0:1], v0, s16, 0
	v_lshlrev_b64 v[2:3], 4, v[2:3]
	v_add3_u32 v1, v1, v9, v8
	v_mov_b32_e32 v8, s3
	v_add_co_u32_e32 v2, vcc, s2, v2
	v_addc_co_u32_e32 v3, vcc, v8, v3, vcc
	v_lshlrev_b64 v[0:1], 4, v[0:1]
	v_add_co_u32_e32 v8, vcc, v2, v0
	v_addc_co_u32_e32 v9, vcc, v3, v1, vcc
	global_load_dwordx4 v[0:3], v[8:9], off
	s_waitcnt vmcnt(0)
	v_mul_f64 v[6:7], s[24:25], v[2:3]
	v_mul_f64 v[2:3], s[22:23], v[2:3]
	v_fma_f64 v[6:7], s[22:23], v[0:1], -v[6:7]
	v_fmac_f64_e32 v[2:3], s[24:25], v[0:1]
	v_add_f64 v[0:1], v[10:11], v[6:7]
	v_add_f64 v[2:3], v[4:5], v[2:3]
	global_store_dwordx4 v[8:9], v[0:3], off
.LBB36_5:
	s_endpgm
	.section	.rodata,"a",@progbits
	.p2align	6, 0x0
	.amdhsa_kernel _ZN9rocsolver6v33100L11gemm_kernelI19rocblas_complex_numIdElS3_PS3_S4_S4_EEvT0_S5_S5_T1_bT2_lS5_S5_lbT3_lS5_S5_lS6_T4_lS5_S5_l
		.amdhsa_group_segment_fixed_size 0
		.amdhsa_private_segment_fixed_size 0
		.amdhsa_kernarg_size 448
		.amdhsa_user_sgpr_count 6
		.amdhsa_user_sgpr_private_segment_buffer 1
		.amdhsa_user_sgpr_dispatch_ptr 0
		.amdhsa_user_sgpr_queue_ptr 0
		.amdhsa_user_sgpr_kernarg_segment_ptr 1
		.amdhsa_user_sgpr_dispatch_id 0
		.amdhsa_user_sgpr_flat_scratch_init 0
		.amdhsa_user_sgpr_kernarg_preload_length 0
		.amdhsa_user_sgpr_kernarg_preload_offset 0
		.amdhsa_user_sgpr_private_segment_size 0
		.amdhsa_uses_dynamic_stack 0
		.amdhsa_system_sgpr_private_segment_wavefront_offset 0
		.amdhsa_system_sgpr_workgroup_id_x 1
		.amdhsa_system_sgpr_workgroup_id_y 1
		.amdhsa_system_sgpr_workgroup_id_z 1
		.amdhsa_system_sgpr_workgroup_info 0
		.amdhsa_system_vgpr_workitem_id 1
		.amdhsa_next_free_vgpr 24
		.amdhsa_next_free_sgpr 44
		.amdhsa_accum_offset 24
		.amdhsa_reserve_vcc 1
		.amdhsa_reserve_flat_scratch 0
		.amdhsa_float_round_mode_32 0
		.amdhsa_float_round_mode_16_64 0
		.amdhsa_float_denorm_mode_32 3
		.amdhsa_float_denorm_mode_16_64 3
		.amdhsa_dx10_clamp 1
		.amdhsa_ieee_mode 1
		.amdhsa_fp16_overflow 0
		.amdhsa_tg_split 0
		.amdhsa_exception_fp_ieee_invalid_op 0
		.amdhsa_exception_fp_denorm_src 0
		.amdhsa_exception_fp_ieee_div_zero 0
		.amdhsa_exception_fp_ieee_overflow 0
		.amdhsa_exception_fp_ieee_underflow 0
		.amdhsa_exception_fp_ieee_inexact 0
		.amdhsa_exception_int_div_zero 0
	.end_amdhsa_kernel
	.section	.text._ZN9rocsolver6v33100L11gemm_kernelI19rocblas_complex_numIdElS3_PS3_S4_S4_EEvT0_S5_S5_T1_bT2_lS5_S5_lbT3_lS5_S5_lS6_T4_lS5_S5_l,"axG",@progbits,_ZN9rocsolver6v33100L11gemm_kernelI19rocblas_complex_numIdElS3_PS3_S4_S4_EEvT0_S5_S5_T1_bT2_lS5_S5_lbT3_lS5_S5_lS6_T4_lS5_S5_l,comdat
.Lfunc_end36:
	.size	_ZN9rocsolver6v33100L11gemm_kernelI19rocblas_complex_numIdElS3_PS3_S4_S4_EEvT0_S5_S5_T1_bT2_lS5_S5_lbT3_lS5_S5_lS6_T4_lS5_S5_l, .Lfunc_end36-_ZN9rocsolver6v33100L11gemm_kernelI19rocblas_complex_numIdElS3_PS3_S4_S4_EEvT0_S5_S5_T1_bT2_lS5_S5_lbT3_lS5_S5_lS6_T4_lS5_S5_l
                                        ; -- End function
	.section	.AMDGPU.csdata,"",@progbits
; Kernel info:
; codeLenInByte = 860
; NumSgprs: 48
; NumVgprs: 24
; NumAgprs: 0
; TotalNumVgprs: 24
; ScratchSize: 0
; MemoryBound: 0
; FloatMode: 240
; IeeeMode: 1
; LDSByteSize: 0 bytes/workgroup (compile time only)
; SGPRBlocks: 5
; VGPRBlocks: 2
; NumSGPRsForWavesPerEU: 48
; NumVGPRsForWavesPerEU: 24
; AccumOffset: 24
; Occupancy: 8
; WaveLimiterHint : 0
; COMPUTE_PGM_RSRC2:SCRATCH_EN: 0
; COMPUTE_PGM_RSRC2:USER_SGPR: 6
; COMPUTE_PGM_RSRC2:TRAP_HANDLER: 0
; COMPUTE_PGM_RSRC2:TGID_X_EN: 1
; COMPUTE_PGM_RSRC2:TGID_Y_EN: 1
; COMPUTE_PGM_RSRC2:TGID_Z_EN: 1
; COMPUTE_PGM_RSRC2:TIDIG_COMP_CNT: 1
; COMPUTE_PGM_RSRC3_GFX90A:ACCUM_OFFSET: 5
; COMPUTE_PGM_RSRC3_GFX90A:TG_SPLIT: 0
	.section	.text._ZN9rocsolver6v33100L16mfma_gemm_kernelI19rocblas_complex_numIdElPKS3_PKPS3_S8_S8_EEv18rocblas_operation_S9_T0_SA_SA_T1_T2_lSA_SA_lT3_lSA_SA_lSB_T4_lSA_SA_l,"axG",@progbits,_ZN9rocsolver6v33100L16mfma_gemm_kernelI19rocblas_complex_numIdElPKS3_PKPS3_S8_S8_EEv18rocblas_operation_S9_T0_SA_SA_T1_T2_lSA_SA_lT3_lSA_SA_lSB_T4_lSA_SA_l,comdat
	.globl	_ZN9rocsolver6v33100L16mfma_gemm_kernelI19rocblas_complex_numIdElPKS3_PKPS3_S8_S8_EEv18rocblas_operation_S9_T0_SA_SA_T1_T2_lSA_SA_lT3_lSA_SA_lSB_T4_lSA_SA_l ; -- Begin function _ZN9rocsolver6v33100L16mfma_gemm_kernelI19rocblas_complex_numIdElPKS3_PKPS3_S8_S8_EEv18rocblas_operation_S9_T0_SA_SA_T1_T2_lSA_SA_lT3_lSA_SA_lSB_T4_lSA_SA_l
	.p2align	8
	.type	_ZN9rocsolver6v33100L16mfma_gemm_kernelI19rocblas_complex_numIdElPKS3_PKPS3_S8_S8_EEv18rocblas_operation_S9_T0_SA_SA_T1_T2_lSA_SA_lT3_lSA_SA_lSB_T4_lSA_SA_l,@function
_ZN9rocsolver6v33100L16mfma_gemm_kernelI19rocblas_complex_numIdElPKS3_PKPS3_S8_S8_EEv18rocblas_operation_S9_T0_SA_SA_T1_T2_lSA_SA_lT3_lSA_SA_lSB_T4_lSA_SA_l: ; @_ZN9rocsolver6v33100L16mfma_gemm_kernelI19rocblas_complex_numIdElPKS3_PKPS3_S8_S8_EEv18rocblas_operation_S9_T0_SA_SA_T1_T2_lSA_SA_lT3_lSA_SA_lSB_T4_lSA_SA_l
; %bb.0:
	s_load_dword s0, s[4:5], 0xb4
	s_load_dwordx16 s[12:27], s[4:5], 0x8
	v_and_b32_e32 v4, 0x3ff, v0
	v_mov_b32_e32 v9, 0
	v_lshrrev_b32_e32 v8, 6, v4
	s_waitcnt lgkmcnt(0)
	s_lshr_b32 s2, s0, 16
	s_bfe_u32 s0, s0, 0xa0006
	v_bfe_u32 v0, v0, 10, 10
	v_mov_b32_e32 v1, v9
	v_mov_b32_e32 v2, s6
	;; [unrolled: 1-line block ×3, first 2 shown]
	v_mad_u64_u32 v[2:3], s[0:1], s0, v2, v[8:9]
	v_mad_u64_u32 v[0:1], s[0:1], s2, v5, v[0:1]
	v_lshlrev_b64 v[12:13], 4, v[2:3]
	v_lshlrev_b64 v[14:15], 4, v[0:1]
	v_cmp_gt_i64_e32 vcc, s[12:13], v[12:13]
	v_cmp_gt_i64_e64 s[0:1], s[14:15], v[14:15]
	s_and_b64 s[0:1], vcc, s[0:1]
	s_and_saveexec_b64 s[2:3], s[0:1]
	s_cbranch_execz .LBB37_36
; %bb.1:
	s_load_dwordx8 s[36:43], s[4:5], 0x78
	s_load_dwordx2 s[34:35], s[4:5], 0x98
	v_add_co_u32_e32 v6, vcc, 16, v12
	v_addc_co_u32_e32 v7, vcc, 0, v13, vcc
	s_and_b32 s0, s12, 15
	s_mov_b32 s9, 0
	v_mov_b32_e32 v5, s0
	v_cmp_lt_u64_e32 vcc, s[12:13], v[6:7]
	s_and_b32 s0, s14, 15
	s_lshl_b64 s[2:3], s[8:9], 3
	v_cndmask_b32_e32 v8, 16, v5, vcc
	v_add_co_u32_e32 v6, vcc, 16, v14
	v_mov_b32_e32 v5, s0
	s_waitcnt lgkmcnt(0)
	s_add_u32 s0, s38, s2
	v_addc_co_u32_e32 v7, vcc, 0, v15, vcc
	s_addc_u32 s1, s39, s3
	v_cmp_lt_u64_e32 vcc, s[14:15], v[6:7]
	s_load_dwordx4 s[52:55], s[18:19], 0x0
	s_load_dwordx4 s[28:31], s[36:37], 0x0
	s_load_dwordx2 s[14:15], s[0:1], 0x0
	v_cndmask_b32_e32 v16, 16, v5, vcc
	v_mov_b32_e32 v17, v9
	v_bfe_u32 v18, v4, 2, 4
	v_mov_b32_e32 v19, v9
	v_cmp_lt_i64_e64 s[0:1], s[16:17], 1
	v_pk_mov_b32 v[36:37], 0, 0
	v_and_b32_e32 v29, 63, v4
	v_and_b32_e32 v10, 3, v4
	v_mov_b32_e32 v11, v9
	s_mov_b64 s[18:19], 0
	s_and_b64 vcc, exec, s[0:1]
	v_cmp_lt_u64_e64 s[0:1], v[18:19], v[16:17]
	v_mbcnt_lo_u32_b32 v46, -1, 0
	v_pk_mov_b32 v[38:39], v[36:37], v[36:37] op_sel:[0,1]
	v_pk_mov_b32 v[20:21], v[36:37], v[36:37] op_sel:[0,1]
	;; [unrolled: 1-line block ×7, first 2 shown]
	s_cbranch_vccnz .LBB37_28
; %bb.2:
	s_load_dwordx2 s[10:11], s[4:5], 0x0
	s_load_dwordx8 s[44:51], s[4:5], 0x50
	v_mov_b32_e32 v5, 0
	v_and_b32_e32 v4, 15, v29
	v_lshrrev_b32_e32 v28, 4, v29
	s_waitcnt lgkmcnt(0)
	s_cmpk_lg_i32 s10, 0x6f
	s_cselect_b64 s[36:37], -1, 0
	s_cmpk_lg_i32 s11, 0x6f
	s_cselect_b64 s[38:39], -1, 0
	s_add_u32 s4, s44, s2
	s_addc_u32 s5, s45, s3
	s_cmpk_eq_i32 s11, 0x6f
	s_cselect_b32 s33, s50, s48
	s_cselect_b32 s56, s51, s49
	s_add_u32 s2, s20, s2
	s_addc_u32 s3, s21, s3
	s_cmpk_eq_i32 s10, 0x6f
	s_cselect_b32 s44, s24, s26
	s_cselect_b32 s45, s25, s27
	s_load_dwordx2 s[12:13], s[4:5], 0x0
	s_load_dwordx2 s[20:21], s[2:3], 0x0
	v_cmp_lt_u64_e64 s[4:5], v[4:5], v[8:9]
	v_cmp_lt_u64_e64 s[6:7], v[4:5], v[16:17]
	v_mul_lo_u32 v5, s45, v2
	v_mul_lo_u32 v6, s44, v3
	v_mad_u64_u32 v[2:3], s[44:45], s44, v2, 0
	v_add3_u32 v3, v3, v6, v5
	v_mad_u64_u32 v[6:7], s[44:45], s26, v28, 0
	v_mov_b32_e32 v20, v7
	v_mad_u64_u32 v[20:21], s[44:45], s27, v28, v[20:21]
	v_mov_b32_e32 v7, v20
	v_lshlrev_b64 v[2:3], 8, v[2:3]
	v_lshlrev_b64 v[6:7], 4, v[6:7]
	v_add_co_u32_e32 v5, vcc, v2, v6
	v_addc_co_u32_e32 v23, vcc, v3, v7, vcc
	v_mad_u64_u32 v[6:7], s[44:45], s24, v4, 0
	v_mov_b32_e32 v20, v7
	s_cmpk_eq_i32 s10, 0x71
	v_mad_u64_u32 v[20:21], s[44:45], s25, v4, v[20:21]
	s_cselect_b64 s[8:9], -1, 0
	s_cmpk_eq_i32 s11, 0x71
	v_mov_b32_e32 v7, v20
	s_cselect_b64 s[10:11], -1, 0
	v_lshlrev_b64 v[6:7], 4, v[6:7]
	s_lshl_b64 s[22:23], s[22:23], 4
	v_add_co_u32_e32 v5, vcc, v5, v6
	s_waitcnt lgkmcnt(0)
	s_add_u32 s44, s20, s22
	v_addc_co_u32_e32 v6, vcc, v23, v7, vcc
	s_addc_u32 s45, s21, s23
	v_mov_b32_e32 v7, s45
	v_add_co_u32_e32 v5, vcc, s44, v5
	v_addc_co_u32_e32 v6, vcc, v7, v6, vcc
	v_add_co_u32_e32 v34, vcc, 8, v5
	v_addc_co_u32_e32 v35, vcc, 0, v6, vcc
	v_mul_lo_u32 v5, s56, v0
	v_mul_lo_u32 v6, s33, v1
	v_mad_u64_u32 v[0:1], s[22:23], s33, v0, 0
	v_add3_u32 v1, v1, v6, v5
	v_mad_u64_u32 v[6:7], s[22:23], s50, v28, 0
	v_mov_b32_e32 v20, v7
	v_mad_u64_u32 v[20:21], s[22:23], s51, v28, v[20:21]
	v_mov_b32_e32 v7, v20
	v_lshlrev_b64 v[0:1], 8, v[0:1]
	v_lshlrev_b64 v[6:7], 4, v[6:7]
	v_add_co_u32_e32 v21, vcc, v0, v6
	v_addc_co_u32_e32 v23, vcc, v1, v7, vcc
	v_mad_u64_u32 v[6:7], s[22:23], s48, v4, 0
	v_mov_b32_e32 v20, v7
	v_lshl_or_b32 v22, v4, 2, v28
	v_mad_u64_u32 v[4:5], s[22:23], s49, v4, v[20:21]
	v_mov_b32_e32 v7, v4
	s_lshl_b64 s[20:21], s[26:27], 6
	v_lshlrev_b64 v[4:5], 4, v[6:7]
	s_lshl_b64 s[22:23], s[46:47], 4
	v_add_co_u32_e32 v4, vcc, v21, v4
	s_add_u32 s33, s12, s22
	v_addc_co_u32_e32 v5, vcc, v23, v5, vcc
	s_addc_u32 s46, s13, s23
	v_mov_b32_e32 v6, s46
	v_add_co_u32_e32 v4, vcc, s33, v4
	v_addc_co_u32_e32 v5, vcc, v6, v5, vcc
	v_add_co_u32_e32 v40, vcc, 8, v4
	v_addc_co_u32_e32 v41, vcc, 0, v5, vcc
	v_mad_u64_u32 v[4:5], s[12:13], s26, v18, 0
	v_mov_b32_e32 v6, v5
	v_mad_u64_u32 v[6:7], s[12:13], s27, v18, v[6:7]
	v_mov_b32_e32 v5, v6
	v_lshlrev_b64 v[4:5], 4, v[4:5]
	v_add_co_u32_e32 v6, vcc, v2, v4
	v_addc_co_u32_e32 v7, vcc, v3, v5, vcc
	v_mad_u64_u32 v[2:3], s[12:13], s24, v10, 0
	v_mov_b32_e32 v4, v3
	v_mad_u64_u32 v[4:5], s[12:13], s25, v10, v[4:5]
	v_mov_b32_e32 v3, v4
	v_lshlrev_b64 v[2:3], 4, v[2:3]
	v_add_co_u32_e32 v2, vcc, v6, v2
	v_addc_co_u32_e32 v3, vcc, v7, v3, vcc
	v_mov_b32_e32 v4, s45
	v_add_co_u32_e32 v2, vcc, s44, v2
	v_addc_co_u32_e32 v3, vcc, v4, v3, vcc
	v_add_co_u32_e32 v42, vcc, 8, v2
	v_addc_co_u32_e32 v43, vcc, 0, v3, vcc
	v_mad_u64_u32 v[2:3], s[12:13], s50, v18, 0
	v_mov_b32_e32 v4, v3
	v_mad_u64_u32 v[4:5], s[12:13], s51, v18, v[4:5]
	v_mov_b32_e32 v3, v4
	v_lshlrev_b64 v[2:3], 4, v[2:3]
	v_add_co_u32_e32 v4, vcc, v0, v2
	v_addc_co_u32_e32 v5, vcc, v1, v3, vcc
	v_mad_u64_u32 v[0:1], s[12:13], s48, v10, 0
	v_mov_b32_e32 v2, v1
	v_mad_u64_u32 v[2:3], s[12:13], s49, v10, v[2:3]
	v_mov_b32_e32 v1, v2
	v_lshlrev_b64 v[0:1], 4, v[0:1]
	v_add_co_u32_e32 v0, vcc, v4, v0
	v_addc_co_u32_e32 v1, vcc, v5, v1, vcc
	v_mov_b32_e32 v2, s46
	v_add_co_u32_e32 v0, vcc, s33, v0
	v_addc_co_u32_e32 v1, vcc, v2, v1, vcc
	v_add_co_u32_e32 v44, vcc, 8, v0
	v_mbcnt_hi_u32_b32 v0, -1, v46
	v_pk_mov_b32 v[20:21], 0, 0
	v_and_or_b32 v0, v0, 64, v22
	v_cmp_lt_u64_e64 s[2:3], v[18:19], v[8:9]
	s_lshl_b64 s[22:23], s[50:51], 6
	s_lshl_b64 s[24:25], s[24:25], 6
	v_addc_co_u32_e32 v45, vcc, 0, v1, vcc
	s_lshl_b64 s[26:27], s[48:49], 6
	v_lshlrev_b32_e32 v47, 2, v0
	v_pk_mov_b32 v[24:25], v[20:21], v[20:21] op_sel:[0,1]
	v_pk_mov_b32 v[30:31], v[20:21], v[20:21] op_sel:[0,1]
	;; [unrolled: 1-line block ×7, first 2 shown]
	s_branch .LBB37_6
.LBB37_3:                               ;   in Loop: Header=BB37_6 Depth=1
	s_or_b64 exec, exec, s[44:45]
.LBB37_4:                               ;   in Loop: Header=BB37_6 Depth=1
	s_or_b64 exec, exec, s[12:13]
	s_waitcnt vmcnt(0)
	ds_bpermute_b32 v4, v47, v4
	ds_bpermute_b32 v5, v47, v5
	;; [unrolled: 1-line block ×4, first 2 shown]
.LBB37_5:                               ;   in Loop: Header=BB37_6 Depth=1
	s_waitcnt vmcnt(0) lgkmcnt(0)
	v_xor_b32_e32 v48, 0x80000000, v3
	v_cndmask_b32_e64 v3, v3, v48, s[8:9]
	v_cndmask_b32_e64 v2, v2, v2, s[8:9]
	v_xor_b32_e32 v48, 0x80000000, v7
	v_cndmask_b32_e64 v7, v7, v48, s[10:11]
	v_cndmask_b32_e64 v6, v6, v6, s[10:11]
	v_mfma_f64_16x16x4f64 v[48:55], v[0:1], v[4:5], 0
	s_add_u32 s18, s18, 4
	s_addc_u32 s19, s19, 0
	v_add_co_u32_e64 v34, s[12:13], s20, v34
	v_mfma_f64_16x16x4f64 v[56:63], v[2:3], v[6:7], 0
	s_nop 7
	s_nop 2
	v_add_f64 v[54:55], v[54:55], -v[62:63]
	v_pk_mov_b32 v[62:63], s[16:17], s[16:17] op_sel:[0,1]
	v_cmp_ge_i64_e32 vcc, s[18:19], v[62:63]
	v_mfma_f64_16x16x4f64 v[62:69], v[0:1], v[6:7], 0
	s_and_b64 vcc, exec, vcc
	v_add_f64 v[52:53], v[52:53], -v[60:61]
	v_add_f64 v[50:51], v[50:51], -v[58:59]
	;; [unrolled: 1-line block ×3, first 2 shown]
	v_add_f64 v[36:37], v[36:37], v[48:49]
	v_add_f64 v[32:33], v[32:33], v[50:51]
	;; [unrolled: 1-line block ×4, first 2 shown]
	v_mfma_f64_16x16x4f64 v[0:7], v[2:3], v[4:5], 0
	s_nop 7
	s_nop 2
	v_add_f64 v[0:1], v[62:63], v[0:1]
	v_add_f64 v[38:39], v[38:39], v[0:1]
	v_mov_b32_e32 v0, s21
	v_addc_co_u32_e64 v35, s[12:13], v35, v0, s[12:13]
	v_mov_b32_e32 v0, s23
	v_add_co_u32_e64 v40, s[12:13], s22, v40
	v_addc_co_u32_e64 v41, s[12:13], v41, v0, s[12:13]
	v_mov_b32_e32 v0, s25
	v_add_co_u32_e64 v42, s[12:13], s24, v42
	v_addc_co_u32_e64 v43, s[12:13], v43, v0, s[12:13]
	v_add_f64 v[6:7], v[68:69], v[6:7]
	v_add_f64 v[4:5], v[66:67], v[4:5]
	;; [unrolled: 1-line block ×3, first 2 shown]
	v_mov_b32_e32 v0, s27
	v_add_co_u32_e64 v44, s[12:13], s26, v44
	v_add_f64 v[30:31], v[30:31], v[2:3]
	v_add_f64 v[24:25], v[24:25], v[4:5]
	;; [unrolled: 1-line block ×3, first 2 shown]
	v_addc_co_u32_e64 v45, s[12:13], v45, v0, s[12:13]
	s_cbranch_vccnz .LBB37_28
.LBB37_6:                               ; =>This Inner Loop Header: Depth=1
	s_and_b64 vcc, exec, s[36:37]
	s_cbranch_vccz .LBB37_18
; %bb.7:                                ;   in Loop: Header=BB37_6 Depth=1
	v_pk_mov_b32 v[0:1], 0, 0
	s_mov_b64 s[12:13], 0
	v_pk_mov_b32 v[2:3], v[0:1], v[0:1] op_sel:[0,1]
	s_and_saveexec_b64 s[44:45], s[2:3]
	s_cbranch_execz .LBB37_11
; %bb.8:                                ;   in Loop: Header=BB37_6 Depth=1
	v_mov_b32_e32 v1, s19
	v_add_co_u32_e32 v0, vcc, s18, v10
	v_addc_co_u32_e32 v1, vcc, 0, v1, vcc
	v_pk_mov_b32 v[2:3], 0, 0
	v_cmp_gt_i64_e32 vcc, s[16:17], v[0:1]
	v_pk_mov_b32 v[0:1], v[2:3], v[2:3] op_sel:[0,1]
	s_and_saveexec_b64 s[46:47], vcc
	s_cbranch_execz .LBB37_10
; %bb.9:                                ;   in Loop: Header=BB37_6 Depth=1
	global_load_dwordx4 v[0:3], v[42:43], off offset:-8
.LBB37_10:                              ;   in Loop: Header=BB37_6 Depth=1
	s_or_b64 exec, exec, s[46:47]
.LBB37_11:                              ;   in Loop: Header=BB37_6 Depth=1
	s_or_b64 exec, exec, s[44:45]
	s_waitcnt vmcnt(0)
	ds_bpermute_b32 v0, v47, v0
	ds_bpermute_b32 v1, v47, v1
	;; [unrolled: 1-line block ×4, first 2 shown]
	s_and_b64 vcc, exec, s[12:13]
	s_cbranch_vccnz .LBB37_19
.LBB37_12:                              ;   in Loop: Header=BB37_6 Depth=1
	s_and_b64 vcc, exec, s[38:39]
	s_cbranch_vccz .LBB37_24
.LBB37_13:                              ;   in Loop: Header=BB37_6 Depth=1
	v_pk_mov_b32 v[6:7], 0, 0
	s_mov_b64 s[12:13], 0
	v_pk_mov_b32 v[4:5], v[6:7], v[6:7] op_sel:[0,1]
	s_and_saveexec_b64 s[44:45], s[6:7]
	s_cbranch_execz .LBB37_17
; %bb.14:                               ;   in Loop: Header=BB37_6 Depth=1
	v_mov_b32_e32 v5, s19
	v_add_co_u32_e32 v4, vcc, s18, v28
	v_addc_co_u32_e32 v5, vcc, 0, v5, vcc
	v_pk_mov_b32 v[6:7], 0, 0
	v_cmp_gt_i64_e32 vcc, s[16:17], v[4:5]
	v_pk_mov_b32 v[4:5], v[6:7], v[6:7] op_sel:[0,1]
	s_and_saveexec_b64 s[46:47], vcc
	s_cbranch_execz .LBB37_16
; %bb.15:                               ;   in Loop: Header=BB37_6 Depth=1
	global_load_dwordx4 v[4:7], v[40:41], off offset:-8
.LBB37_16:                              ;   in Loop: Header=BB37_6 Depth=1
	s_or_b64 exec, exec, s[46:47]
.LBB37_17:                              ;   in Loop: Header=BB37_6 Depth=1
	s_or_b64 exec, exec, s[44:45]
	s_andn2_b64 vcc, exec, s[12:13]
	s_cbranch_vccnz .LBB37_5
	s_branch .LBB37_25
.LBB37_18:                              ;   in Loop: Header=BB37_6 Depth=1
                                        ; implicit-def: $vgpr2_vgpr3
	s_cbranch_execz .LBB37_12
.LBB37_19:                              ;   in Loop: Header=BB37_6 Depth=1
	s_waitcnt lgkmcnt(0)
	v_pk_mov_b32 v[2:3], 0, 0
	v_pk_mov_b32 v[0:1], v[2:3], v[2:3] op_sel:[0,1]
	s_and_saveexec_b64 s[12:13], s[4:5]
	s_cbranch_execz .LBB37_23
; %bb.20:                               ;   in Loop: Header=BB37_6 Depth=1
	v_mov_b32_e32 v1, s19
	v_add_co_u32_e32 v0, vcc, s18, v28
	v_addc_co_u32_e32 v1, vcc, 0, v1, vcc
	v_pk_mov_b32 v[2:3], 0, 0
	v_cmp_gt_i64_e32 vcc, s[16:17], v[0:1]
	v_pk_mov_b32 v[0:1], v[2:3], v[2:3] op_sel:[0,1]
	s_and_saveexec_b64 s[44:45], vcc
	s_cbranch_execz .LBB37_22
; %bb.21:                               ;   in Loop: Header=BB37_6 Depth=1
	global_load_dwordx4 v[0:3], v[34:35], off offset:-8
.LBB37_22:                              ;   in Loop: Header=BB37_6 Depth=1
	s_or_b64 exec, exec, s[44:45]
.LBB37_23:                              ;   in Loop: Header=BB37_6 Depth=1
	s_or_b64 exec, exec, s[12:13]
	s_and_b64 vcc, exec, s[38:39]
	s_cbranch_vccnz .LBB37_13
.LBB37_24:                              ;   in Loop: Header=BB37_6 Depth=1
                                        ; implicit-def: $vgpr6_vgpr7
.LBB37_25:                              ;   in Loop: Header=BB37_6 Depth=1
	s_waitcnt vmcnt(0)
	v_pk_mov_b32 v[4:5], 0, 0
	v_pk_mov_b32 v[6:7], v[4:5], v[4:5] op_sel:[0,1]
	s_and_saveexec_b64 s[12:13], s[0:1]
	s_cbranch_execz .LBB37_4
; %bb.26:                               ;   in Loop: Header=BB37_6 Depth=1
	v_mov_b32_e32 v5, s19
	v_add_co_u32_e32 v4, vcc, s18, v10
	v_addc_co_u32_e32 v5, vcc, 0, v5, vcc
	v_pk_mov_b32 v[6:7], 0, 0
	v_cmp_gt_i64_e32 vcc, s[16:17], v[4:5]
	v_pk_mov_b32 v[4:5], v[6:7], v[6:7] op_sel:[0,1]
	s_and_saveexec_b64 s[44:45], vcc
	s_cbranch_execz .LBB37_3
; %bb.27:                               ;   in Loop: Header=BB37_6 Depth=1
	global_load_dwordx4 v[4:7], v[44:45], off offset:-8
	s_branch .LBB37_3
.LBB37_28:
	s_lshl_b64 s[0:1], s[40:41], 4
	s_waitcnt lgkmcnt(0)
	s_add_u32 s2, s14, s0
	s_addc_u32 s3, s15, s1
	v_mul_lo_u32 v2, v15, s34
	v_mul_lo_u32 v3, v14, s35
	v_mad_u64_u32 v[0:1], s[0:1], v14, s34, 0
	v_add3_u32 v1, v1, v3, v2
	v_mul_lo_u32 v4, v13, s42
	v_mul_lo_u32 v5, v12, s43
	v_mad_u64_u32 v[2:3], s[0:1], v12, s42, 0
	v_lshlrev_b64 v[0:1], 4, v[0:1]
	v_add3_u32 v3, v3, v5, v4
	v_mov_b32_e32 v4, s3
	v_add_co_u32_e32 v5, vcc, s2, v0
	v_addc_co_u32_e32 v4, vcc, v4, v1, vcc
	v_lshlrev_b64 v[0:1], 4, v[2:3]
	v_add_co_u32_e32 v6, vcc, v5, v0
	v_lshl_or_b32 v0, v29, 4, v18
	v_addc_co_u32_e32 v7, vcc, v4, v1, vcc
	v_mbcnt_hi_u32_b32 v1, -1, v46
	v_and_b32_e32 v0, 63, v0
	v_and_or_b32 v0, v1, 64, v0
	v_lshlrev_b32_e32 v12, 2, v0
	v_mad_u64_u32 v[0:1], s[0:1], v18, s34, 0
	v_mov_b32_e32 v2, v1
	v_mad_u64_u32 v[2:3], s[0:1], v18, s35, v[2:3]
	v_mov_b32_e32 v1, v2
	v_lshlrev_b64 v[4:5], 4, v[0:1]
	ds_bpermute_b32 v0, v12, v36
	ds_bpermute_b32 v1, v12, v37
	;; [unrolled: 1-line block ×4, first 2 shown]
	v_add_co_u32_e64 v6, s[0:1], v6, v4
	v_addc_co_u32_e64 v7, s[0:1], v7, v5, s[0:1]
	v_cmp_lt_u64_e32 vcc, v[18:19], v[16:17]
	v_cmp_lt_u64_e64 s[0:1], v[10:11], v[8:9]
	s_and_b64 s[0:1], vcc, s[0:1]
	s_and_saveexec_b64 s[2:3], s[0:1]
	s_cbranch_execz .LBB37_30
; %bb.29:
	v_mad_u64_u32 v[4:5], s[0:1], v10, s42, 0
	v_mov_b32_e32 v14, v5
	v_mad_u64_u32 v[14:15], s[0:1], v10, s43, v[14:15]
	v_mov_b32_e32 v5, v14
	v_lshlrev_b64 v[4:5], 4, v[4:5]
	v_add_co_u32_e64 v4, s[0:1], v6, v4
	v_addc_co_u32_e64 v5, s[0:1], v7, v5, s[0:1]
	global_load_dwordx4 v[14:17], v[4:5], off
	s_waitcnt lgkmcnt(0)
	v_mul_f64 v[18:19], s[54:55], v[2:3]
	v_mul_f64 v[2:3], s[52:53], v[2:3]
	v_fma_f64 v[18:19], s[52:53], v[0:1], -v[18:19]
	v_fmac_f64_e32 v[2:3], s[54:55], v[0:1]
	s_waitcnt vmcnt(0)
	v_mul_f64 v[0:1], s[30:31], v[16:17]
	v_mul_f64 v[16:17], s[28:29], v[16:17]
	v_fma_f64 v[0:1], s[28:29], v[14:15], -v[0:1]
	v_fmac_f64_e32 v[16:17], s[30:31], v[14:15]
	v_add_f64 v[0:1], v[18:19], v[0:1]
	v_add_f64 v[2:3], v[2:3], v[16:17]
	global_store_dwordx4 v[4:5], v[0:3], off
.LBB37_30:
	s_or_b64 exec, exec, s[2:3]
	s_waitcnt lgkmcnt(3)
	ds_bpermute_b32 v0, v12, v32
	s_waitcnt lgkmcnt(3)
	ds_bpermute_b32 v1, v12, v33
	s_waitcnt lgkmcnt(3)
	ds_bpermute_b32 v2, v12, v30
	s_waitcnt lgkmcnt(3)
	ds_bpermute_b32 v3, v12, v31
	v_or_b32_e32 v4, 4, v10
	v_mov_b32_e32 v5, v11
	v_cmp_lt_u64_e64 s[0:1], v[4:5], v[8:9]
	s_and_b64 s[0:1], vcc, s[0:1]
	s_and_saveexec_b64 s[2:3], s[0:1]
	s_cbranch_execz .LBB37_32
; %bb.31:
	v_mad_u64_u32 v[14:15], s[0:1], v4, s42, 0
	v_mov_b32_e32 v16, v15
	v_mad_u64_u32 v[4:5], s[0:1], v4, s43, v[16:17]
	v_mov_b32_e32 v15, v4
	v_lshlrev_b64 v[4:5], 4, v[14:15]
	v_add_co_u32_e64 v4, s[0:1], v6, v4
	v_addc_co_u32_e64 v5, s[0:1], v7, v5, s[0:1]
	global_load_dwordx4 v[14:17], v[4:5], off
	s_waitcnt lgkmcnt(0)
	v_mul_f64 v[18:19], s[54:55], v[2:3]
	v_mul_f64 v[2:3], s[52:53], v[2:3]
	v_fma_f64 v[18:19], s[52:53], v[0:1], -v[18:19]
	v_fmac_f64_e32 v[2:3], s[54:55], v[0:1]
	s_waitcnt vmcnt(0)
	v_mul_f64 v[0:1], s[30:31], v[16:17]
	v_mul_f64 v[16:17], s[28:29], v[16:17]
	v_fma_f64 v[0:1], s[28:29], v[14:15], -v[0:1]
	v_fmac_f64_e32 v[16:17], s[30:31], v[14:15]
	v_add_f64 v[0:1], v[18:19], v[0:1]
	v_add_f64 v[2:3], v[2:3], v[16:17]
	global_store_dwordx4 v[4:5], v[0:3], off
.LBB37_32:
	s_or_b64 exec, exec, s[2:3]
	s_waitcnt lgkmcnt(3)
	ds_bpermute_b32 v0, v12, v26
	s_waitcnt lgkmcnt(3)
	ds_bpermute_b32 v1, v12, v27
	;; [unrolled: 2-line block ×4, first 2 shown]
	v_or_b32_e32 v4, 8, v10
	v_mov_b32_e32 v5, v11
	v_cmp_lt_u64_e64 s[0:1], v[4:5], v[8:9]
	s_and_b64 s[0:1], vcc, s[0:1]
	s_and_saveexec_b64 s[2:3], s[0:1]
	s_cbranch_execz .LBB37_34
; %bb.33:
	v_mad_u64_u32 v[14:15], s[0:1], v4, s42, 0
	v_mov_b32_e32 v16, v15
	v_mad_u64_u32 v[4:5], s[0:1], v4, s43, v[16:17]
	v_mov_b32_e32 v15, v4
	v_lshlrev_b64 v[4:5], 4, v[14:15]
	v_add_co_u32_e64 v4, s[0:1], v6, v4
	v_addc_co_u32_e64 v5, s[0:1], v7, v5, s[0:1]
	global_load_dwordx4 v[14:17], v[4:5], off
	s_waitcnt lgkmcnt(0)
	v_mul_f64 v[18:19], s[54:55], v[2:3]
	v_mul_f64 v[2:3], s[52:53], v[2:3]
	v_fma_f64 v[18:19], s[52:53], v[0:1], -v[18:19]
	v_fmac_f64_e32 v[2:3], s[54:55], v[0:1]
	s_waitcnt vmcnt(0)
	v_mul_f64 v[0:1], s[30:31], v[16:17]
	v_mul_f64 v[16:17], s[28:29], v[16:17]
	v_fma_f64 v[0:1], s[28:29], v[14:15], -v[0:1]
	v_fmac_f64_e32 v[16:17], s[30:31], v[14:15]
	v_add_f64 v[0:1], v[18:19], v[0:1]
	v_add_f64 v[2:3], v[2:3], v[16:17]
	global_store_dwordx4 v[4:5], v[0:3], off
.LBB37_34:
	s_or_b64 exec, exec, s[2:3]
	s_waitcnt lgkmcnt(3)
	ds_bpermute_b32 v0, v12, v22
	s_waitcnt lgkmcnt(3)
	ds_bpermute_b32 v1, v12, v23
	s_waitcnt lgkmcnt(3)
	ds_bpermute_b32 v2, v12, v20
	s_waitcnt lgkmcnt(3)
	ds_bpermute_b32 v3, v12, v21
	v_or_b32_e32 v10, 12, v10
	v_cmp_lt_u64_e64 s[0:1], v[10:11], v[8:9]
	s_and_b64 s[0:1], vcc, s[0:1]
	s_and_b64 exec, exec, s[0:1]
	s_cbranch_execz .LBB37_36
; %bb.35:
	v_mad_u64_u32 v[4:5], s[0:1], v10, s42, 0
	v_mov_b32_e32 v8, v5
	v_mad_u64_u32 v[8:9], s[0:1], v10, s43, v[8:9]
	v_mov_b32_e32 v5, v8
	v_lshlrev_b64 v[4:5], 4, v[4:5]
	v_add_co_u32_e32 v8, vcc, v6, v4
	v_addc_co_u32_e32 v9, vcc, v7, v5, vcc
	global_load_dwordx4 v[4:7], v[8:9], off
	s_waitcnt lgkmcnt(0)
	v_mul_f64 v[10:11], s[54:55], v[2:3]
	v_mul_f64 v[2:3], s[52:53], v[2:3]
	v_fma_f64 v[10:11], s[52:53], v[0:1], -v[10:11]
	v_fmac_f64_e32 v[2:3], s[54:55], v[0:1]
	s_waitcnt vmcnt(0)
	v_mul_f64 v[0:1], s[30:31], v[6:7]
	v_mul_f64 v[6:7], s[28:29], v[6:7]
	v_fma_f64 v[0:1], s[28:29], v[4:5], -v[0:1]
	v_fmac_f64_e32 v[6:7], s[30:31], v[4:5]
	v_add_f64 v[0:1], v[10:11], v[0:1]
	v_add_f64 v[2:3], v[2:3], v[6:7]
	global_store_dwordx4 v[8:9], v[0:3], off
.LBB37_36:
	s_endpgm
	.section	.rodata,"a",@progbits
	.p2align	6, 0x0
	.amdhsa_kernel _ZN9rocsolver6v33100L16mfma_gemm_kernelI19rocblas_complex_numIdElPKS3_PKPS3_S8_S8_EEv18rocblas_operation_S9_T0_SA_SA_T1_T2_lSA_SA_lT3_lSA_SA_lSB_T4_lSA_SA_l
		.amdhsa_group_segment_fixed_size 0
		.amdhsa_private_segment_fixed_size 0
		.amdhsa_kernarg_size 424
		.amdhsa_user_sgpr_count 6
		.amdhsa_user_sgpr_private_segment_buffer 1
		.amdhsa_user_sgpr_dispatch_ptr 0
		.amdhsa_user_sgpr_queue_ptr 0
		.amdhsa_user_sgpr_kernarg_segment_ptr 1
		.amdhsa_user_sgpr_dispatch_id 0
		.amdhsa_user_sgpr_flat_scratch_init 0
		.amdhsa_user_sgpr_kernarg_preload_length 0
		.amdhsa_user_sgpr_kernarg_preload_offset 0
		.amdhsa_user_sgpr_private_segment_size 0
		.amdhsa_uses_dynamic_stack 0
		.amdhsa_system_sgpr_private_segment_wavefront_offset 0
		.amdhsa_system_sgpr_workgroup_id_x 1
		.amdhsa_system_sgpr_workgroup_id_y 1
		.amdhsa_system_sgpr_workgroup_id_z 1
		.amdhsa_system_sgpr_workgroup_info 0
		.amdhsa_system_vgpr_workitem_id 1
		.amdhsa_next_free_vgpr 70
		.amdhsa_next_free_sgpr 57
		.amdhsa_accum_offset 72
		.amdhsa_reserve_vcc 1
		.amdhsa_reserve_flat_scratch 0
		.amdhsa_float_round_mode_32 0
		.amdhsa_float_round_mode_16_64 0
		.amdhsa_float_denorm_mode_32 3
		.amdhsa_float_denorm_mode_16_64 3
		.amdhsa_dx10_clamp 1
		.amdhsa_ieee_mode 1
		.amdhsa_fp16_overflow 0
		.amdhsa_tg_split 0
		.amdhsa_exception_fp_ieee_invalid_op 0
		.amdhsa_exception_fp_denorm_src 0
		.amdhsa_exception_fp_ieee_div_zero 0
		.amdhsa_exception_fp_ieee_overflow 0
		.amdhsa_exception_fp_ieee_underflow 0
		.amdhsa_exception_fp_ieee_inexact 0
		.amdhsa_exception_int_div_zero 0
	.end_amdhsa_kernel
	.section	.text._ZN9rocsolver6v33100L16mfma_gemm_kernelI19rocblas_complex_numIdElPKS3_PKPS3_S8_S8_EEv18rocblas_operation_S9_T0_SA_SA_T1_T2_lSA_SA_lT3_lSA_SA_lSB_T4_lSA_SA_l,"axG",@progbits,_ZN9rocsolver6v33100L16mfma_gemm_kernelI19rocblas_complex_numIdElPKS3_PKPS3_S8_S8_EEv18rocblas_operation_S9_T0_SA_SA_T1_T2_lSA_SA_lT3_lSA_SA_lSB_T4_lSA_SA_l,comdat
.Lfunc_end37:
	.size	_ZN9rocsolver6v33100L16mfma_gemm_kernelI19rocblas_complex_numIdElPKS3_PKPS3_S8_S8_EEv18rocblas_operation_S9_T0_SA_SA_T1_T2_lSA_SA_lT3_lSA_SA_lSB_T4_lSA_SA_l, .Lfunc_end37-_ZN9rocsolver6v33100L16mfma_gemm_kernelI19rocblas_complex_numIdElPKS3_PKPS3_S8_S8_EEv18rocblas_operation_S9_T0_SA_SA_T1_T2_lSA_SA_lT3_lSA_SA_lSB_T4_lSA_SA_l
                                        ; -- End function
	.section	.AMDGPU.csdata,"",@progbits
; Kernel info:
; codeLenInByte = 2980
; NumSgprs: 61
; NumVgprs: 70
; NumAgprs: 0
; TotalNumVgprs: 70
; ScratchSize: 0
; MemoryBound: 1
; FloatMode: 240
; IeeeMode: 1
; LDSByteSize: 0 bytes/workgroup (compile time only)
; SGPRBlocks: 7
; VGPRBlocks: 8
; NumSGPRsForWavesPerEU: 61
; NumVGPRsForWavesPerEU: 70
; AccumOffset: 72
; Occupancy: 7
; WaveLimiterHint : 1
; COMPUTE_PGM_RSRC2:SCRATCH_EN: 0
; COMPUTE_PGM_RSRC2:USER_SGPR: 6
; COMPUTE_PGM_RSRC2:TRAP_HANDLER: 0
; COMPUTE_PGM_RSRC2:TGID_X_EN: 1
; COMPUTE_PGM_RSRC2:TGID_Y_EN: 1
; COMPUTE_PGM_RSRC2:TGID_Z_EN: 1
; COMPUTE_PGM_RSRC2:TIDIG_COMP_CNT: 1
; COMPUTE_PGM_RSRC3_GFX90A:ACCUM_OFFSET: 17
; COMPUTE_PGM_RSRC3_GFX90A:TG_SPLIT: 0
	.section	.text._ZN9rocsolver6v33100L16mfma_gemm_kernelI19rocblas_complex_numIdElS3_PKPS3_S6_S6_EEv18rocblas_operation_S7_T0_S8_S8_T1_T2_lS8_S8_lT3_lS8_S8_lS9_T4_lS8_S8_l,"axG",@progbits,_ZN9rocsolver6v33100L16mfma_gemm_kernelI19rocblas_complex_numIdElS3_PKPS3_S6_S6_EEv18rocblas_operation_S7_T0_S8_S8_T1_T2_lS8_S8_lT3_lS8_S8_lS9_T4_lS8_S8_l,comdat
	.globl	_ZN9rocsolver6v33100L16mfma_gemm_kernelI19rocblas_complex_numIdElS3_PKPS3_S6_S6_EEv18rocblas_operation_S7_T0_S8_S8_T1_T2_lS8_S8_lT3_lS8_S8_lS9_T4_lS8_S8_l ; -- Begin function _ZN9rocsolver6v33100L16mfma_gemm_kernelI19rocblas_complex_numIdElS3_PKPS3_S6_S6_EEv18rocblas_operation_S7_T0_S8_S8_T1_T2_lS8_S8_lT3_lS8_S8_lS9_T4_lS8_S8_l
	.p2align	8
	.type	_ZN9rocsolver6v33100L16mfma_gemm_kernelI19rocblas_complex_numIdElS3_PKPS3_S6_S6_EEv18rocblas_operation_S7_T0_S8_S8_T1_T2_lS8_S8_lT3_lS8_S8_lS9_T4_lS8_S8_l,@function
_ZN9rocsolver6v33100L16mfma_gemm_kernelI19rocblas_complex_numIdElS3_PKPS3_S6_S6_EEv18rocblas_operation_S7_T0_S8_S8_T1_T2_lS8_S8_lT3_lS8_S8_lS9_T4_lS8_S8_l: ; @_ZN9rocsolver6v33100L16mfma_gemm_kernelI19rocblas_complex_numIdElS3_PKPS3_S6_S6_EEv18rocblas_operation_S7_T0_S8_S8_T1_T2_lS8_S8_lT3_lS8_S8_lS9_T4_lS8_S8_l
; %bb.0:
	s_load_dword s0, s[4:5], 0xc4
	s_load_dwordx16 s[12:27], s[4:5], 0x8
	v_and_b32_e32 v4, 0x3ff, v0
	v_mov_b32_e32 v9, 0
	v_lshrrev_b32_e32 v8, 6, v4
	s_waitcnt lgkmcnt(0)
	s_lshr_b32 s2, s0, 16
	s_bfe_u32 s0, s0, 0xa0006
	v_bfe_u32 v0, v0, 10, 10
	v_mov_b32_e32 v1, v9
	v_mov_b32_e32 v2, s6
	;; [unrolled: 1-line block ×3, first 2 shown]
	v_mad_u64_u32 v[2:3], s[0:1], s0, v2, v[8:9]
	v_mad_u64_u32 v[0:1], s[0:1], s2, v5, v[0:1]
	v_lshlrev_b64 v[12:13], 4, v[2:3]
	v_lshlrev_b64 v[16:17], 4, v[0:1]
	v_cmp_gt_i64_e32 vcc, s[12:13], v[12:13]
	v_cmp_gt_i64_e64 s[0:1], s[14:15], v[16:17]
	s_and_b64 s[0:1], vcc, s[0:1]
	s_and_saveexec_b64 s[2:3], s[0:1]
	s_cbranch_execz .LBB38_36
; %bb.1:
	s_load_dwordx8 s[36:43], s[4:5], 0x80
	s_load_dwordx4 s[28:31], s[4:5], 0xa0
	v_add_co_u32_e32 v6, vcc, 16, v12
	v_addc_co_u32_e32 v7, vcc, 0, v13, vcc
	s_and_b32 s0, s12, 15
	s_mov_b32 s9, 0
	v_mov_b32_e32 v5, s0
	v_cmp_lt_u64_e32 vcc, s[12:13], v[6:7]
	s_and_b32 s0, s14, 15
	s_lshl_b64 s[2:3], s[8:9], 3
	v_cndmask_b32_e32 v8, 16, v5, vcc
	v_add_co_u32_e32 v6, vcc, 16, v16
	v_mov_b32_e32 v5, s0
	s_waitcnt lgkmcnt(0)
	s_add_u32 s0, s40, s2
	v_addc_co_u32_e32 v7, vcc, 0, v17, vcc
	s_addc_u32 s1, s41, s3
	v_cmp_lt_u64_e32 vcc, s[14:15], v[6:7]
	s_load_dwordx2 s[14:15], s[0:1], 0x0
	v_cndmask_b32_e32 v14, 16, v5, vcc
	v_mov_b32_e32 v15, v9
	v_bfe_u32 v18, v4, 2, 4
	v_mov_b32_e32 v19, v9
	v_cmp_lt_i64_e64 s[0:1], s[16:17], 1
	v_pk_mov_b32 v[36:37], 0, 0
	v_and_b32_e32 v46, 63, v4
	v_and_b32_e32 v10, 3, v4
	v_mov_b32_e32 v11, v9
	s_mov_b64 s[34:35], 0
	s_and_b64 vcc, exec, s[0:1]
	v_cmp_lt_u64_e64 s[0:1], v[18:19], v[14:15]
	v_mbcnt_lo_u32_b32 v29, -1, 0
	v_pk_mov_b32 v[38:39], v[36:37], v[36:37] op_sel:[0,1]
	v_pk_mov_b32 v[20:21], v[36:37], v[36:37] op_sel:[0,1]
	;; [unrolled: 1-line block ×7, first 2 shown]
	s_cbranch_vccnz .LBB38_28
; %bb.2:
	s_load_dwordx2 s[10:11], s[4:5], 0x0
	s_load_dwordx8 s[44:51], s[4:5], 0x58
	s_load_dwordx2 s[12:13], s[4:5], 0x48
	v_mov_b32_e32 v5, 0
	v_and_b32_e32 v4, 15, v46
	s_waitcnt lgkmcnt(0)
	s_cmpk_lg_i32 s10, 0x6f
	s_cselect_b64 s[40:41], -1, 0
	s_cmpk_lg_i32 s11, 0x6f
	s_cselect_b64 s[52:53], -1, 0
	s_add_u32 s4, s44, s2
	s_addc_u32 s5, s45, s3
	s_cmpk_eq_i32 s11, 0x6f
	s_cselect_b32 s33, s50, s48
	s_cselect_b32 s56, s51, s49
	s_add_u32 s2, s22, s2
	s_addc_u32 s3, s23, s3
	s_cmpk_eq_i32 s10, 0x6f
	s_cselect_b32 s54, s26, s12
	s_cselect_b32 s55, s27, s13
	v_lshrrev_b32_e32 v28, 4, v46
	s_load_dwordx2 s[44:45], s[4:5], 0x0
	s_load_dwordx2 s[22:23], s[2:3], 0x0
	v_cmp_lt_u64_e64 s[4:5], v[4:5], v[8:9]
	v_cmp_lt_u64_e64 s[6:7], v[4:5], v[14:15]
	v_mul_lo_u32 v5, s55, v2
	v_mul_lo_u32 v6, s54, v3
	v_mad_u64_u32 v[2:3], s[54:55], s54, v2, 0
	v_add3_u32 v3, v3, v6, v5
	v_mad_u64_u32 v[6:7], s[54:55], s12, v28, 0
	v_mov_b32_e32 v20, v7
	v_mad_u64_u32 v[20:21], s[54:55], s13, v28, v[20:21]
	v_mov_b32_e32 v7, v20
	v_lshlrev_b64 v[2:3], 8, v[2:3]
	v_lshlrev_b64 v[6:7], 4, v[6:7]
	v_add_co_u32_e32 v5, vcc, v2, v6
	v_addc_co_u32_e32 v23, vcc, v3, v7, vcc
	v_mad_u64_u32 v[6:7], s[54:55], s26, v4, 0
	v_mov_b32_e32 v20, v7
	s_cmpk_eq_i32 s10, 0x71
	v_mad_u64_u32 v[20:21], s[54:55], s27, v4, v[20:21]
	s_cselect_b64 s[8:9], -1, 0
	s_cmpk_eq_i32 s11, 0x71
	v_mov_b32_e32 v7, v20
	s_cselect_b64 s[10:11], -1, 0
	v_lshlrev_b64 v[6:7], 4, v[6:7]
	s_lshl_b64 s[24:25], s[24:25], 4
	v_add_co_u32_e32 v5, vcc, v5, v6
	s_waitcnt lgkmcnt(0)
	s_add_u32 s54, s22, s24
	v_addc_co_u32_e32 v6, vcc, v23, v7, vcc
	s_addc_u32 s55, s23, s25
	v_mov_b32_e32 v7, s55
	v_add_co_u32_e32 v5, vcc, s54, v5
	v_addc_co_u32_e32 v6, vcc, v7, v6, vcc
	v_add_co_u32_e32 v34, vcc, 8, v5
	v_addc_co_u32_e32 v35, vcc, 0, v6, vcc
	v_mul_lo_u32 v5, s56, v0
	v_mul_lo_u32 v6, s33, v1
	v_mad_u64_u32 v[0:1], s[24:25], s33, v0, 0
	v_add3_u32 v1, v1, v6, v5
	v_mad_u64_u32 v[6:7], s[24:25], s50, v28, 0
	v_mov_b32_e32 v20, v7
	v_mad_u64_u32 v[20:21], s[24:25], s51, v28, v[20:21]
	v_mov_b32_e32 v7, v20
	v_lshlrev_b64 v[0:1], 8, v[0:1]
	v_lshlrev_b64 v[6:7], 4, v[6:7]
	v_add_co_u32_e32 v21, vcc, v0, v6
	v_addc_co_u32_e32 v23, vcc, v1, v7, vcc
	v_mad_u64_u32 v[6:7], s[24:25], s48, v4, 0
	v_mov_b32_e32 v20, v7
	v_lshl_or_b32 v22, v4, 2, v28
	v_mad_u64_u32 v[4:5], s[24:25], s49, v4, v[20:21]
	v_mov_b32_e32 v7, v4
	s_lshl_b64 s[22:23], s[12:13], 6
	v_lshlrev_b64 v[4:5], 4, v[6:7]
	s_lshl_b64 s[24:25], s[46:47], 4
	v_add_co_u32_e32 v4, vcc, v21, v4
	s_add_u32 s33, s44, s24
	v_addc_co_u32_e32 v5, vcc, v23, v5, vcc
	s_addc_u32 s46, s45, s25
	v_mov_b32_e32 v6, s46
	v_add_co_u32_e32 v4, vcc, s33, v4
	v_addc_co_u32_e32 v5, vcc, v6, v5, vcc
	v_add_co_u32_e32 v40, vcc, 8, v4
	v_addc_co_u32_e32 v41, vcc, 0, v5, vcc
	v_mad_u64_u32 v[4:5], s[44:45], s12, v18, 0
	v_mov_b32_e32 v6, v5
	v_mad_u64_u32 v[6:7], s[12:13], s13, v18, v[6:7]
	v_mov_b32_e32 v5, v6
	v_lshlrev_b64 v[4:5], 4, v[4:5]
	v_add_co_u32_e32 v6, vcc, v2, v4
	v_addc_co_u32_e32 v7, vcc, v3, v5, vcc
	v_mad_u64_u32 v[2:3], s[12:13], s26, v10, 0
	v_mov_b32_e32 v4, v3
	v_mad_u64_u32 v[4:5], s[12:13], s27, v10, v[4:5]
	v_mov_b32_e32 v3, v4
	v_lshlrev_b64 v[2:3], 4, v[2:3]
	v_add_co_u32_e32 v2, vcc, v6, v2
	v_addc_co_u32_e32 v3, vcc, v7, v3, vcc
	v_mov_b32_e32 v4, s55
	v_add_co_u32_e32 v2, vcc, s54, v2
	v_addc_co_u32_e32 v3, vcc, v4, v3, vcc
	v_add_co_u32_e32 v42, vcc, 8, v2
	v_addc_co_u32_e32 v43, vcc, 0, v3, vcc
	v_mad_u64_u32 v[2:3], s[12:13], s50, v18, 0
	v_mov_b32_e32 v4, v3
	v_mad_u64_u32 v[4:5], s[12:13], s51, v18, v[4:5]
	v_mov_b32_e32 v3, v4
	v_lshlrev_b64 v[2:3], 4, v[2:3]
	v_add_co_u32_e32 v4, vcc, v0, v2
	v_addc_co_u32_e32 v5, vcc, v1, v3, vcc
	v_mad_u64_u32 v[0:1], s[12:13], s48, v10, 0
	v_mov_b32_e32 v2, v1
	v_mad_u64_u32 v[2:3], s[12:13], s49, v10, v[2:3]
	v_mov_b32_e32 v1, v2
	v_lshlrev_b64 v[0:1], 4, v[0:1]
	v_add_co_u32_e32 v0, vcc, v4, v0
	v_addc_co_u32_e32 v1, vcc, v5, v1, vcc
	v_mov_b32_e32 v2, s46
	v_add_co_u32_e32 v0, vcc, s33, v0
	v_addc_co_u32_e32 v1, vcc, v2, v1, vcc
	v_add_co_u32_e32 v44, vcc, 8, v0
	v_mbcnt_hi_u32_b32 v0, -1, v29
	v_pk_mov_b32 v[20:21], 0, 0
	v_and_or_b32 v0, v0, 64, v22
	v_cmp_lt_u64_e64 s[2:3], v[18:19], v[8:9]
	s_lshl_b64 s[24:25], s[50:51], 6
	s_lshl_b64 s[26:27], s[26:27], 6
	v_addc_co_u32_e32 v45, vcc, 0, v1, vcc
	s_lshl_b64 s[44:45], s[48:49], 6
	v_lshlrev_b32_e32 v47, 2, v0
	v_pk_mov_b32 v[24:25], v[20:21], v[20:21] op_sel:[0,1]
	v_pk_mov_b32 v[30:31], v[20:21], v[20:21] op_sel:[0,1]
	;; [unrolled: 1-line block ×7, first 2 shown]
	s_branch .LBB38_6
.LBB38_3:                               ;   in Loop: Header=BB38_6 Depth=1
	s_or_b64 exec, exec, s[46:47]
.LBB38_4:                               ;   in Loop: Header=BB38_6 Depth=1
	s_or_b64 exec, exec, s[12:13]
	s_waitcnt vmcnt(0)
	ds_bpermute_b32 v4, v47, v4
	ds_bpermute_b32 v5, v47, v5
	;; [unrolled: 1-line block ×4, first 2 shown]
.LBB38_5:                               ;   in Loop: Header=BB38_6 Depth=1
	s_waitcnt vmcnt(0) lgkmcnt(0)
	v_xor_b32_e32 v48, 0x80000000, v3
	v_cndmask_b32_e64 v3, v3, v48, s[8:9]
	v_cndmask_b32_e64 v2, v2, v2, s[8:9]
	v_xor_b32_e32 v48, 0x80000000, v7
	v_cndmask_b32_e64 v7, v7, v48, s[10:11]
	v_cndmask_b32_e64 v6, v6, v6, s[10:11]
	v_mfma_f64_16x16x4f64 v[48:55], v[0:1], v[4:5], 0
	s_add_u32 s34, s34, 4
	s_addc_u32 s35, s35, 0
	v_add_co_u32_e64 v34, s[12:13], s22, v34
	v_mfma_f64_16x16x4f64 v[56:63], v[2:3], v[6:7], 0
	s_nop 7
	s_nop 2
	v_add_f64 v[54:55], v[54:55], -v[62:63]
	v_pk_mov_b32 v[62:63], s[16:17], s[16:17] op_sel:[0,1]
	v_cmp_ge_i64_e32 vcc, s[34:35], v[62:63]
	v_mfma_f64_16x16x4f64 v[62:69], v[0:1], v[6:7], 0
	s_and_b64 vcc, exec, vcc
	v_add_f64 v[52:53], v[52:53], -v[60:61]
	v_add_f64 v[50:51], v[50:51], -v[58:59]
	;; [unrolled: 1-line block ×3, first 2 shown]
	v_add_f64 v[36:37], v[36:37], v[48:49]
	v_add_f64 v[32:33], v[32:33], v[50:51]
	;; [unrolled: 1-line block ×4, first 2 shown]
	v_mfma_f64_16x16x4f64 v[0:7], v[2:3], v[4:5], 0
	s_nop 7
	s_nop 2
	v_add_f64 v[0:1], v[62:63], v[0:1]
	v_add_f64 v[38:39], v[38:39], v[0:1]
	v_mov_b32_e32 v0, s23
	v_addc_co_u32_e64 v35, s[12:13], v35, v0, s[12:13]
	v_mov_b32_e32 v0, s25
	v_add_co_u32_e64 v40, s[12:13], s24, v40
	v_addc_co_u32_e64 v41, s[12:13], v41, v0, s[12:13]
	v_mov_b32_e32 v0, s27
	v_add_co_u32_e64 v42, s[12:13], s26, v42
	v_addc_co_u32_e64 v43, s[12:13], v43, v0, s[12:13]
	v_add_f64 v[6:7], v[68:69], v[6:7]
	v_add_f64 v[4:5], v[66:67], v[4:5]
	;; [unrolled: 1-line block ×3, first 2 shown]
	v_mov_b32_e32 v0, s45
	v_add_co_u32_e64 v44, s[12:13], s44, v44
	v_add_f64 v[30:31], v[30:31], v[2:3]
	v_add_f64 v[24:25], v[24:25], v[4:5]
	;; [unrolled: 1-line block ×3, first 2 shown]
	v_addc_co_u32_e64 v45, s[12:13], v45, v0, s[12:13]
	s_cbranch_vccnz .LBB38_28
.LBB38_6:                               ; =>This Inner Loop Header: Depth=1
	s_and_b64 vcc, exec, s[40:41]
	s_cbranch_vccz .LBB38_18
; %bb.7:                                ;   in Loop: Header=BB38_6 Depth=1
	v_pk_mov_b32 v[0:1], 0, 0
	s_mov_b64 s[12:13], 0
	v_pk_mov_b32 v[2:3], v[0:1], v[0:1] op_sel:[0,1]
	s_and_saveexec_b64 s[46:47], s[2:3]
	s_cbranch_execz .LBB38_11
; %bb.8:                                ;   in Loop: Header=BB38_6 Depth=1
	v_mov_b32_e32 v1, s35
	v_add_co_u32_e32 v0, vcc, s34, v10
	v_addc_co_u32_e32 v1, vcc, 0, v1, vcc
	v_pk_mov_b32 v[2:3], 0, 0
	v_cmp_gt_i64_e32 vcc, s[16:17], v[0:1]
	v_pk_mov_b32 v[0:1], v[2:3], v[2:3] op_sel:[0,1]
	s_and_saveexec_b64 s[48:49], vcc
	s_cbranch_execz .LBB38_10
; %bb.9:                                ;   in Loop: Header=BB38_6 Depth=1
	global_load_dwordx4 v[0:3], v[42:43], off offset:-8
.LBB38_10:                              ;   in Loop: Header=BB38_6 Depth=1
	s_or_b64 exec, exec, s[48:49]
.LBB38_11:                              ;   in Loop: Header=BB38_6 Depth=1
	s_or_b64 exec, exec, s[46:47]
	s_waitcnt vmcnt(0)
	ds_bpermute_b32 v0, v47, v0
	ds_bpermute_b32 v1, v47, v1
	;; [unrolled: 1-line block ×4, first 2 shown]
	s_and_b64 vcc, exec, s[12:13]
	s_cbranch_vccnz .LBB38_19
.LBB38_12:                              ;   in Loop: Header=BB38_6 Depth=1
	s_and_b64 vcc, exec, s[52:53]
	s_cbranch_vccz .LBB38_24
.LBB38_13:                              ;   in Loop: Header=BB38_6 Depth=1
	v_pk_mov_b32 v[6:7], 0, 0
	s_mov_b64 s[12:13], 0
	v_pk_mov_b32 v[4:5], v[6:7], v[6:7] op_sel:[0,1]
	s_and_saveexec_b64 s[46:47], s[6:7]
	s_cbranch_execz .LBB38_17
; %bb.14:                               ;   in Loop: Header=BB38_6 Depth=1
	v_mov_b32_e32 v5, s35
	v_add_co_u32_e32 v4, vcc, s34, v28
	v_addc_co_u32_e32 v5, vcc, 0, v5, vcc
	v_pk_mov_b32 v[6:7], 0, 0
	v_cmp_gt_i64_e32 vcc, s[16:17], v[4:5]
	v_pk_mov_b32 v[4:5], v[6:7], v[6:7] op_sel:[0,1]
	s_and_saveexec_b64 s[48:49], vcc
	s_cbranch_execz .LBB38_16
; %bb.15:                               ;   in Loop: Header=BB38_6 Depth=1
	global_load_dwordx4 v[4:7], v[40:41], off offset:-8
.LBB38_16:                              ;   in Loop: Header=BB38_6 Depth=1
	s_or_b64 exec, exec, s[48:49]
.LBB38_17:                              ;   in Loop: Header=BB38_6 Depth=1
	s_or_b64 exec, exec, s[46:47]
	s_andn2_b64 vcc, exec, s[12:13]
	s_cbranch_vccnz .LBB38_5
	s_branch .LBB38_25
.LBB38_18:                              ;   in Loop: Header=BB38_6 Depth=1
                                        ; implicit-def: $vgpr2_vgpr3
	s_cbranch_execz .LBB38_12
.LBB38_19:                              ;   in Loop: Header=BB38_6 Depth=1
	s_waitcnt lgkmcnt(0)
	v_pk_mov_b32 v[2:3], 0, 0
	v_pk_mov_b32 v[0:1], v[2:3], v[2:3] op_sel:[0,1]
	s_and_saveexec_b64 s[12:13], s[4:5]
	s_cbranch_execz .LBB38_23
; %bb.20:                               ;   in Loop: Header=BB38_6 Depth=1
	v_mov_b32_e32 v1, s35
	v_add_co_u32_e32 v0, vcc, s34, v28
	v_addc_co_u32_e32 v1, vcc, 0, v1, vcc
	v_pk_mov_b32 v[2:3], 0, 0
	v_cmp_gt_i64_e32 vcc, s[16:17], v[0:1]
	v_pk_mov_b32 v[0:1], v[2:3], v[2:3] op_sel:[0,1]
	s_and_saveexec_b64 s[46:47], vcc
	s_cbranch_execz .LBB38_22
; %bb.21:                               ;   in Loop: Header=BB38_6 Depth=1
	global_load_dwordx4 v[0:3], v[34:35], off offset:-8
.LBB38_22:                              ;   in Loop: Header=BB38_6 Depth=1
	s_or_b64 exec, exec, s[46:47]
.LBB38_23:                              ;   in Loop: Header=BB38_6 Depth=1
	s_or_b64 exec, exec, s[12:13]
	s_and_b64 vcc, exec, s[52:53]
	s_cbranch_vccnz .LBB38_13
.LBB38_24:                              ;   in Loop: Header=BB38_6 Depth=1
                                        ; implicit-def: $vgpr6_vgpr7
.LBB38_25:                              ;   in Loop: Header=BB38_6 Depth=1
	s_waitcnt vmcnt(0)
	v_pk_mov_b32 v[4:5], 0, 0
	v_pk_mov_b32 v[6:7], v[4:5], v[4:5] op_sel:[0,1]
	s_and_saveexec_b64 s[12:13], s[0:1]
	s_cbranch_execz .LBB38_4
; %bb.26:                               ;   in Loop: Header=BB38_6 Depth=1
	v_mov_b32_e32 v5, s35
	v_add_co_u32_e32 v4, vcc, s34, v10
	v_addc_co_u32_e32 v5, vcc, 0, v5, vcc
	v_pk_mov_b32 v[6:7], 0, 0
	v_cmp_gt_i64_e32 vcc, s[16:17], v[4:5]
	v_pk_mov_b32 v[4:5], v[6:7], v[6:7] op_sel:[0,1]
	s_and_saveexec_b64 s[46:47], vcc
	s_cbranch_execz .LBB38_3
; %bb.27:                               ;   in Loop: Header=BB38_6 Depth=1
	global_load_dwordx4 v[4:7], v[44:45], off offset:-8
	s_branch .LBB38_3
.LBB38_28:
	s_lshl_b64 s[0:1], s[42:43], 4
	s_waitcnt lgkmcnt(0)
	s_add_u32 s2, s14, s0
	s_addc_u32 s3, s15, s1
	v_mul_lo_u32 v2, v17, s30
	v_mul_lo_u32 v3, v16, s31
	v_mad_u64_u32 v[0:1], s[0:1], v16, s30, 0
	v_add3_u32 v1, v1, v3, v2
	v_mul_lo_u32 v4, v13, s28
	v_mul_lo_u32 v5, v12, s29
	v_mad_u64_u32 v[2:3], s[0:1], v12, s28, 0
	v_lshlrev_b64 v[0:1], 4, v[0:1]
	v_add3_u32 v3, v3, v5, v4
	v_mov_b32_e32 v4, s3
	v_add_co_u32_e32 v5, vcc, s2, v0
	v_addc_co_u32_e32 v4, vcc, v4, v1, vcc
	v_lshlrev_b64 v[0:1], 4, v[2:3]
	v_add_co_u32_e32 v6, vcc, v5, v0
	v_lshl_or_b32 v0, v46, 4, v18
	v_addc_co_u32_e32 v7, vcc, v4, v1, vcc
	v_mbcnt_hi_u32_b32 v1, -1, v29
	v_and_b32_e32 v0, 63, v0
	v_and_or_b32 v0, v1, 64, v0
	v_lshlrev_b32_e32 v12, 2, v0
	v_mad_u64_u32 v[0:1], s[0:1], v18, s30, 0
	v_mov_b32_e32 v2, v1
	v_mad_u64_u32 v[2:3], s[0:1], v18, s31, v[2:3]
	v_mov_b32_e32 v1, v2
	v_lshlrev_b64 v[4:5], 4, v[0:1]
	ds_bpermute_b32 v0, v12, v36
	ds_bpermute_b32 v1, v12, v37
	;; [unrolled: 1-line block ×4, first 2 shown]
	v_add_co_u32_e64 v6, s[0:1], v6, v4
	v_addc_co_u32_e64 v7, s[0:1], v7, v5, s[0:1]
	v_cmp_lt_u64_e32 vcc, v[18:19], v[14:15]
	v_cmp_lt_u64_e64 s[0:1], v[10:11], v[8:9]
	s_and_b64 s[0:1], vcc, s[0:1]
	s_and_saveexec_b64 s[2:3], s[0:1]
	s_cbranch_execz .LBB38_30
; %bb.29:
	v_mad_u64_u32 v[4:5], s[0:1], v10, s28, 0
	v_mov_b32_e32 v14, v5
	v_mad_u64_u32 v[14:15], s[0:1], v10, s29, v[14:15]
	v_mov_b32_e32 v5, v14
	v_lshlrev_b64 v[4:5], 4, v[4:5]
	v_add_co_u32_e64 v4, s[0:1], v6, v4
	v_addc_co_u32_e64 v5, s[0:1], v7, v5, s[0:1]
	global_load_dwordx4 v[14:17], v[4:5], off
	s_waitcnt lgkmcnt(0)
	v_mul_f64 v[18:19], s[20:21], v[2:3]
	v_mul_f64 v[2:3], s[18:19], v[2:3]
	v_fma_f64 v[18:19], s[18:19], v[0:1], -v[18:19]
	v_fmac_f64_e32 v[2:3], s[20:21], v[0:1]
	s_waitcnt vmcnt(0)
	v_mul_f64 v[0:1], s[38:39], v[16:17]
	v_mul_f64 v[16:17], s[36:37], v[16:17]
	v_fma_f64 v[0:1], s[36:37], v[14:15], -v[0:1]
	v_fmac_f64_e32 v[16:17], s[38:39], v[14:15]
	v_add_f64 v[0:1], v[18:19], v[0:1]
	v_add_f64 v[2:3], v[2:3], v[16:17]
	global_store_dwordx4 v[4:5], v[0:3], off
.LBB38_30:
	s_or_b64 exec, exec, s[2:3]
	s_waitcnt lgkmcnt(3)
	ds_bpermute_b32 v0, v12, v32
	s_waitcnt lgkmcnt(3)
	ds_bpermute_b32 v1, v12, v33
	;; [unrolled: 2-line block ×4, first 2 shown]
	v_or_b32_e32 v4, 4, v10
	v_mov_b32_e32 v5, v11
	v_cmp_lt_u64_e64 s[0:1], v[4:5], v[8:9]
	s_and_b64 s[0:1], vcc, s[0:1]
	s_and_saveexec_b64 s[2:3], s[0:1]
	s_cbranch_execz .LBB38_32
; %bb.31:
	v_mad_u64_u32 v[14:15], s[0:1], v4, s28, 0
	v_mov_b32_e32 v16, v15
	v_mad_u64_u32 v[4:5], s[0:1], v4, s29, v[16:17]
	v_mov_b32_e32 v15, v4
	v_lshlrev_b64 v[4:5], 4, v[14:15]
	v_add_co_u32_e64 v4, s[0:1], v6, v4
	v_addc_co_u32_e64 v5, s[0:1], v7, v5, s[0:1]
	global_load_dwordx4 v[14:17], v[4:5], off
	s_waitcnt lgkmcnt(0)
	v_mul_f64 v[18:19], s[20:21], v[2:3]
	v_mul_f64 v[2:3], s[18:19], v[2:3]
	v_fma_f64 v[18:19], s[18:19], v[0:1], -v[18:19]
	v_fmac_f64_e32 v[2:3], s[20:21], v[0:1]
	s_waitcnt vmcnt(0)
	v_mul_f64 v[0:1], s[38:39], v[16:17]
	v_mul_f64 v[16:17], s[36:37], v[16:17]
	v_fma_f64 v[0:1], s[36:37], v[14:15], -v[0:1]
	v_fmac_f64_e32 v[16:17], s[38:39], v[14:15]
	v_add_f64 v[0:1], v[18:19], v[0:1]
	v_add_f64 v[2:3], v[2:3], v[16:17]
	global_store_dwordx4 v[4:5], v[0:3], off
.LBB38_32:
	s_or_b64 exec, exec, s[2:3]
	s_waitcnt lgkmcnt(3)
	ds_bpermute_b32 v0, v12, v26
	s_waitcnt lgkmcnt(3)
	ds_bpermute_b32 v1, v12, v27
	;; [unrolled: 2-line block ×4, first 2 shown]
	v_or_b32_e32 v4, 8, v10
	v_mov_b32_e32 v5, v11
	v_cmp_lt_u64_e64 s[0:1], v[4:5], v[8:9]
	s_and_b64 s[0:1], vcc, s[0:1]
	s_and_saveexec_b64 s[2:3], s[0:1]
	s_cbranch_execz .LBB38_34
; %bb.33:
	v_mad_u64_u32 v[14:15], s[0:1], v4, s28, 0
	v_mov_b32_e32 v16, v15
	v_mad_u64_u32 v[4:5], s[0:1], v4, s29, v[16:17]
	v_mov_b32_e32 v15, v4
	v_lshlrev_b64 v[4:5], 4, v[14:15]
	v_add_co_u32_e64 v4, s[0:1], v6, v4
	v_addc_co_u32_e64 v5, s[0:1], v7, v5, s[0:1]
	global_load_dwordx4 v[14:17], v[4:5], off
	s_waitcnt lgkmcnt(0)
	v_mul_f64 v[18:19], s[20:21], v[2:3]
	v_mul_f64 v[2:3], s[18:19], v[2:3]
	v_fma_f64 v[18:19], s[18:19], v[0:1], -v[18:19]
	v_fmac_f64_e32 v[2:3], s[20:21], v[0:1]
	s_waitcnt vmcnt(0)
	v_mul_f64 v[0:1], s[38:39], v[16:17]
	v_mul_f64 v[16:17], s[36:37], v[16:17]
	v_fma_f64 v[0:1], s[36:37], v[14:15], -v[0:1]
	v_fmac_f64_e32 v[16:17], s[38:39], v[14:15]
	v_add_f64 v[0:1], v[18:19], v[0:1]
	v_add_f64 v[2:3], v[2:3], v[16:17]
	global_store_dwordx4 v[4:5], v[0:3], off
.LBB38_34:
	s_or_b64 exec, exec, s[2:3]
	s_waitcnt lgkmcnt(3)
	ds_bpermute_b32 v0, v12, v22
	s_waitcnt lgkmcnt(3)
	ds_bpermute_b32 v1, v12, v23
	;; [unrolled: 2-line block ×4, first 2 shown]
	v_or_b32_e32 v10, 12, v10
	v_cmp_lt_u64_e64 s[0:1], v[10:11], v[8:9]
	s_and_b64 s[0:1], vcc, s[0:1]
	s_and_b64 exec, exec, s[0:1]
	s_cbranch_execz .LBB38_36
; %bb.35:
	v_mad_u64_u32 v[4:5], s[0:1], v10, s28, 0
	v_mov_b32_e32 v8, v5
	v_mad_u64_u32 v[8:9], s[0:1], v10, s29, v[8:9]
	v_mov_b32_e32 v5, v8
	v_lshlrev_b64 v[4:5], 4, v[4:5]
	v_add_co_u32_e32 v8, vcc, v6, v4
	v_addc_co_u32_e32 v9, vcc, v7, v5, vcc
	global_load_dwordx4 v[4:7], v[8:9], off
	s_waitcnt lgkmcnt(0)
	v_mul_f64 v[10:11], s[20:21], v[2:3]
	v_mul_f64 v[2:3], s[18:19], v[2:3]
	v_fma_f64 v[10:11], s[18:19], v[0:1], -v[10:11]
	v_fmac_f64_e32 v[2:3], s[20:21], v[0:1]
	s_waitcnt vmcnt(0)
	v_mul_f64 v[0:1], s[38:39], v[6:7]
	v_mul_f64 v[6:7], s[36:37], v[6:7]
	v_fma_f64 v[0:1], s[36:37], v[4:5], -v[0:1]
	v_fmac_f64_e32 v[6:7], s[38:39], v[4:5]
	v_add_f64 v[0:1], v[10:11], v[0:1]
	v_add_f64 v[2:3], v[2:3], v[6:7]
	global_store_dwordx4 v[8:9], v[0:3], off
.LBB38_36:
	s_endpgm
	.section	.rodata,"a",@progbits
	.p2align	6, 0x0
	.amdhsa_kernel _ZN9rocsolver6v33100L16mfma_gemm_kernelI19rocblas_complex_numIdElS3_PKPS3_S6_S6_EEv18rocblas_operation_S7_T0_S8_S8_T1_T2_lS8_S8_lT3_lS8_S8_lS9_T4_lS8_S8_l
		.amdhsa_group_segment_fixed_size 0
		.amdhsa_private_segment_fixed_size 0
		.amdhsa_kernarg_size 440
		.amdhsa_user_sgpr_count 6
		.amdhsa_user_sgpr_private_segment_buffer 1
		.amdhsa_user_sgpr_dispatch_ptr 0
		.amdhsa_user_sgpr_queue_ptr 0
		.amdhsa_user_sgpr_kernarg_segment_ptr 1
		.amdhsa_user_sgpr_dispatch_id 0
		.amdhsa_user_sgpr_flat_scratch_init 0
		.amdhsa_user_sgpr_kernarg_preload_length 0
		.amdhsa_user_sgpr_kernarg_preload_offset 0
		.amdhsa_user_sgpr_private_segment_size 0
		.amdhsa_uses_dynamic_stack 0
		.amdhsa_system_sgpr_private_segment_wavefront_offset 0
		.amdhsa_system_sgpr_workgroup_id_x 1
		.amdhsa_system_sgpr_workgroup_id_y 1
		.amdhsa_system_sgpr_workgroup_id_z 1
		.amdhsa_system_sgpr_workgroup_info 0
		.amdhsa_system_vgpr_workitem_id 1
		.amdhsa_next_free_vgpr 70
		.amdhsa_next_free_sgpr 57
		.amdhsa_accum_offset 72
		.amdhsa_reserve_vcc 1
		.amdhsa_reserve_flat_scratch 0
		.amdhsa_float_round_mode_32 0
		.amdhsa_float_round_mode_16_64 0
		.amdhsa_float_denorm_mode_32 3
		.amdhsa_float_denorm_mode_16_64 3
		.amdhsa_dx10_clamp 1
		.amdhsa_ieee_mode 1
		.amdhsa_fp16_overflow 0
		.amdhsa_tg_split 0
		.amdhsa_exception_fp_ieee_invalid_op 0
		.amdhsa_exception_fp_denorm_src 0
		.amdhsa_exception_fp_ieee_div_zero 0
		.amdhsa_exception_fp_ieee_overflow 0
		.amdhsa_exception_fp_ieee_underflow 0
		.amdhsa_exception_fp_ieee_inexact 0
		.amdhsa_exception_int_div_zero 0
	.end_amdhsa_kernel
	.section	.text._ZN9rocsolver6v33100L16mfma_gemm_kernelI19rocblas_complex_numIdElS3_PKPS3_S6_S6_EEv18rocblas_operation_S7_T0_S8_S8_T1_T2_lS8_S8_lT3_lS8_S8_lS9_T4_lS8_S8_l,"axG",@progbits,_ZN9rocsolver6v33100L16mfma_gemm_kernelI19rocblas_complex_numIdElS3_PKPS3_S6_S6_EEv18rocblas_operation_S7_T0_S8_S8_T1_T2_lS8_S8_lT3_lS8_S8_lS9_T4_lS8_S8_l,comdat
.Lfunc_end38:
	.size	_ZN9rocsolver6v33100L16mfma_gemm_kernelI19rocblas_complex_numIdElS3_PKPS3_S6_S6_EEv18rocblas_operation_S7_T0_S8_S8_T1_T2_lS8_S8_lT3_lS8_S8_lS9_T4_lS8_S8_l, .Lfunc_end38-_ZN9rocsolver6v33100L16mfma_gemm_kernelI19rocblas_complex_numIdElS3_PKPS3_S6_S6_EEv18rocblas_operation_S7_T0_S8_S8_T1_T2_lS8_S8_lT3_lS8_S8_lS9_T4_lS8_S8_l
                                        ; -- End function
	.section	.AMDGPU.csdata,"",@progbits
; Kernel info:
; codeLenInByte = 2972
; NumSgprs: 61
; NumVgprs: 70
; NumAgprs: 0
; TotalNumVgprs: 70
; ScratchSize: 0
; MemoryBound: 1
; FloatMode: 240
; IeeeMode: 1
; LDSByteSize: 0 bytes/workgroup (compile time only)
; SGPRBlocks: 7
; VGPRBlocks: 8
; NumSGPRsForWavesPerEU: 61
; NumVGPRsForWavesPerEU: 70
; AccumOffset: 72
; Occupancy: 7
; WaveLimiterHint : 1
; COMPUTE_PGM_RSRC2:SCRATCH_EN: 0
; COMPUTE_PGM_RSRC2:USER_SGPR: 6
; COMPUTE_PGM_RSRC2:TRAP_HANDLER: 0
; COMPUTE_PGM_RSRC2:TGID_X_EN: 1
; COMPUTE_PGM_RSRC2:TGID_Y_EN: 1
; COMPUTE_PGM_RSRC2:TGID_Z_EN: 1
; COMPUTE_PGM_RSRC2:TIDIG_COMP_CNT: 1
; COMPUTE_PGM_RSRC3_GFX90A:ACCUM_OFFSET: 17
; COMPUTE_PGM_RSRC3_GFX90A:TG_SPLIT: 0
	.section	.text._ZN9rocsolver6v33100L11gemm_kernelI19rocblas_complex_numIdElPKS3_PKPS3_S8_S8_EEvT0_S9_S9_T1_bT2_lS9_S9_lbT3_lS9_S9_lSA_T4_lS9_S9_l,"axG",@progbits,_ZN9rocsolver6v33100L11gemm_kernelI19rocblas_complex_numIdElPKS3_PKPS3_S8_S8_EEvT0_S9_S9_T1_bT2_lS9_S9_lbT3_lS9_S9_lSA_T4_lS9_S9_l,comdat
	.globl	_ZN9rocsolver6v33100L11gemm_kernelI19rocblas_complex_numIdElPKS3_PKPS3_S8_S8_EEvT0_S9_S9_T1_bT2_lS9_S9_lbT3_lS9_S9_lSA_T4_lS9_S9_l ; -- Begin function _ZN9rocsolver6v33100L11gemm_kernelI19rocblas_complex_numIdElPKS3_PKPS3_S8_S8_EEvT0_S9_S9_T1_bT2_lS9_S9_lbT3_lS9_S9_lSA_T4_lS9_S9_l
	.p2align	8
	.type	_ZN9rocsolver6v33100L11gemm_kernelI19rocblas_complex_numIdElPKS3_PKPS3_S8_S8_EEvT0_S9_S9_T1_bT2_lS9_S9_lbT3_lS9_S9_lSA_T4_lS9_S9_l,@function
_ZN9rocsolver6v33100L11gemm_kernelI19rocblas_complex_numIdElPKS3_PKPS3_S8_S8_EEvT0_S9_S9_T1_bT2_lS9_S9_lbT3_lS9_S9_lSA_T4_lS9_S9_l: ; @_ZN9rocsolver6v33100L11gemm_kernelI19rocblas_complex_numIdElPKS3_PKPS3_S8_S8_EEvT0_S9_S9_T1_bT2_lS9_S9_lbT3_lS9_S9_lSA_T4_lS9_S9_l
; %bb.0:
	s_load_dword s0, s[4:5], 0xbc
	s_load_dwordx8 s[16:23], s[4:5], 0x0
	v_and_b32_e32 v4, 0x3ff, v0
	v_mov_b32_e32 v5, 0
	v_mov_b32_e32 v1, s6
	s_waitcnt lgkmcnt(0)
	s_lshr_b32 s2, s0, 16
	s_and_b32 s0, s0, 0xffff
	v_mad_u64_u32 v[2:3], s[0:1], s0, v1, v[4:5]
	v_bfe_u32 v4, v0, 10, 10
	v_mov_b32_e32 v0, s7
	v_mad_u64_u32 v[0:1], s[0:1], s2, v0, v[4:5]
	v_cmp_gt_i64_e32 vcc, s[16:17], v[2:3]
	v_cmp_gt_i64_e64 s[0:1], s[18:19], v[0:1]
	s_mov_b32 s9, 0
	s_and_b64 s[0:1], vcc, s[0:1]
	s_and_saveexec_b64 s[2:3], s[0:1]
	s_cbranch_execz .LBB39_5
; %bb.1:
	s_load_dwordx8 s[12:19], s[4:5], 0x80
	s_load_dwordx2 s[10:11], s[4:5], 0xa0
	s_lshl_b64 s[0:1], s[8:9], 3
	v_cmp_lt_i64_e64 s[2:3], s[20:21], 1
	v_pk_mov_b32 v[4:5], 0, 0
	s_waitcnt lgkmcnt(0)
	s_add_u32 s6, s14, s0
	s_addc_u32 s7, s15, s1
	s_load_dwordx2 s[8:9], s[6:7], 0x0
	s_and_b64 vcc, exec, s[2:3]
	v_pk_mov_b32 v[6:7], v[4:5], v[4:5] op_sel:[0,1]
	s_cbranch_vccnz .LBB39_4
; %bb.2:
	s_load_dwordx8 s[36:43], s[4:5], 0x28
	s_load_dword s14, s[4:5], 0x20
	s_load_dwordx8 s[24:31], s[4:5], 0x58
	s_load_dword s15, s[4:5], 0x50
	s_waitcnt lgkmcnt(0)
	s_add_u32 s2, s36, s0
	s_addc_u32 s3, s37, s1
	s_load_dwordx2 s[2:3], s[2:3], 0x0
	s_add_u32 s0, s24, s0
	s_addc_u32 s1, s25, s1
	s_bitcmp1_b32 s14, 0
	s_cselect_b64 vcc, -1, 0
	s_bitcmp1_b32 s15, 0
	v_mad_u64_u32 v[4:5], s[4:5], s40, v2, 0
	s_load_dwordx2 s[6:7], s[0:1], 0x0
	s_cselect_b64 s[0:1], -1, 0
	v_mul_lo_u32 v6, s41, v2
	v_mul_lo_u32 v7, s40, v3
	s_lshl_b64 s[4:5], s[38:39], 4
	v_add3_u32 v5, v5, v7, v6
	s_waitcnt lgkmcnt(0)
	s_add_u32 s2, s2, s4
	v_lshlrev_b64 v[4:5], 4, v[4:5]
	s_addc_u32 s3, s3, s5
	v_mov_b32_e32 v6, s3
	v_add_co_u32_e64 v4, s[2:3], s2, v4
	v_addc_co_u32_e64 v5, s[2:3], v6, v5, s[2:3]
	v_add_co_u32_e64 v8, s[2:3], 8, v4
	v_addc_co_u32_e64 v9, s[2:3], 0, v5, s[2:3]
	v_mad_u64_u32 v[4:5], s[2:3], s30, v0, 0
	s_lshl_b64 s[4:5], s[42:43], 4
	v_mul_lo_u32 v6, s31, v0
	v_mul_lo_u32 v7, s30, v1
	s_lshl_b64 s[2:3], s[26:27], 4
	v_add3_u32 v5, v5, v7, v6
	s_add_u32 s2, s6, s2
	v_lshlrev_b64 v[4:5], 4, v[4:5]
	s_addc_u32 s3, s7, s3
	v_mov_b32_e32 v6, s3
	v_add_co_u32_e64 v4, s[2:3], s2, v4
	v_addc_co_u32_e64 v5, s[2:3], v6, v5, s[2:3]
	v_add_co_u32_e64 v10, s[2:3], 8, v4
	v_addc_co_u32_e64 v11, s[2:3], 0, v5, s[2:3]
	s_lshl_b64 s[6:7], s[28:29], 4
	v_pk_mov_b32 v[4:5], 0, 0
	v_mov_b32_e32 v12, s5
	v_mov_b32_e32 v13, s7
	v_pk_mov_b32 v[6:7], v[4:5], v[4:5] op_sel:[0,1]
.LBB39_3:                               ; =>This Inner Loop Header: Depth=1
	global_load_dwordx4 v[14:17], v[8:9], off offset:-8
	global_load_dwordx4 v[18:21], v[10:11], off offset:-8
	v_add_co_u32_e64 v8, s[2:3], s4, v8
	s_add_u32 s20, s20, -1
	v_addc_co_u32_e64 v9, s[2:3], v9, v12, s[2:3]
	v_add_co_u32_e64 v10, s[2:3], s6, v10
	s_addc_u32 s21, s21, -1
	v_addc_co_u32_e64 v11, s[2:3], v11, v13, s[2:3]
	s_cmp_eq_u64 s[20:21], 0
	s_waitcnt vmcnt(1)
	v_xor_b32_e32 v22, 0x80000000, v17
	s_waitcnt vmcnt(0)
	v_xor_b32_e32 v23, 0x80000000, v21
	v_cndmask_b32_e32 v17, v17, v22, vcc
	v_cndmask_b32_e64 v21, v21, v23, s[0:1]
	v_mul_f64 v[22:23], v[16:17], v[20:21]
	v_mul_f64 v[16:17], v[16:17], v[18:19]
	v_fma_f64 v[18:19], v[14:15], v[18:19], -v[22:23]
	v_fmac_f64_e32 v[16:17], v[14:15], v[20:21]
	v_add_f64 v[6:7], v[6:7], v[18:19]
	v_add_f64 v[4:5], v[4:5], v[16:17]
	s_cbranch_scc0 .LBB39_3
.LBB39_4:
	s_load_dwordx4 s[4:7], s[22:23], 0x0
	s_load_dwordx4 s[0:3], s[12:13], 0x0
	s_lshl_b64 s[12:13], s[16:17], 4
	s_waitcnt lgkmcnt(0)
	s_add_u32 s12, s8, s12
	s_addc_u32 s13, s9, s13
	v_mul_lo_u32 v8, v3, s18
	v_mul_lo_u32 v9, v2, s19
	v_mad_u64_u32 v[2:3], s[8:9], v2, s18, 0
	v_add3_u32 v3, v3, v9, v8
	v_mul_lo_u32 v8, v1, s10
	v_mul_lo_u32 v9, v0, s11
	v_mad_u64_u32 v[0:1], s[8:9], v0, s10, 0
	v_lshlrev_b64 v[2:3], 4, v[2:3]
	v_add3_u32 v1, v1, v9, v8
	v_mov_b32_e32 v8, s13
	v_add_co_u32_e32 v2, vcc, s12, v2
	v_addc_co_u32_e32 v3, vcc, v8, v3, vcc
	v_lshlrev_b64 v[0:1], 4, v[0:1]
	v_add_co_u32_e32 v8, vcc, v2, v0
	v_addc_co_u32_e32 v9, vcc, v3, v1, vcc
	global_load_dwordx4 v[0:3], v[8:9], off
	v_mul_f64 v[10:11], s[6:7], v[4:5]
	v_mul_f64 v[4:5], s[4:5], v[4:5]
	v_fma_f64 v[10:11], s[4:5], v[6:7], -v[10:11]
	v_fmac_f64_e32 v[4:5], s[6:7], v[6:7]
	s_waitcnt vmcnt(0)
	v_mul_f64 v[6:7], s[2:3], v[2:3]
	v_mul_f64 v[2:3], s[0:1], v[2:3]
	v_fma_f64 v[6:7], s[0:1], v[0:1], -v[6:7]
	v_fmac_f64_e32 v[2:3], s[2:3], v[0:1]
	v_add_f64 v[0:1], v[10:11], v[6:7]
	v_add_f64 v[2:3], v[4:5], v[2:3]
	global_store_dwordx4 v[8:9], v[0:3], off
.LBB39_5:
	s_endpgm
	.section	.rodata,"a",@progbits
	.p2align	6, 0x0
	.amdhsa_kernel _ZN9rocsolver6v33100L11gemm_kernelI19rocblas_complex_numIdElPKS3_PKPS3_S8_S8_EEvT0_S9_S9_T1_bT2_lS9_S9_lbT3_lS9_S9_lSA_T4_lS9_S9_l
		.amdhsa_group_segment_fixed_size 0
		.amdhsa_private_segment_fixed_size 0
		.amdhsa_kernarg_size 432
		.amdhsa_user_sgpr_count 6
		.amdhsa_user_sgpr_private_segment_buffer 1
		.amdhsa_user_sgpr_dispatch_ptr 0
		.amdhsa_user_sgpr_queue_ptr 0
		.amdhsa_user_sgpr_kernarg_segment_ptr 1
		.amdhsa_user_sgpr_dispatch_id 0
		.amdhsa_user_sgpr_flat_scratch_init 0
		.amdhsa_user_sgpr_kernarg_preload_length 0
		.amdhsa_user_sgpr_kernarg_preload_offset 0
		.amdhsa_user_sgpr_private_segment_size 0
		.amdhsa_uses_dynamic_stack 0
		.amdhsa_system_sgpr_private_segment_wavefront_offset 0
		.amdhsa_system_sgpr_workgroup_id_x 1
		.amdhsa_system_sgpr_workgroup_id_y 1
		.amdhsa_system_sgpr_workgroup_id_z 1
		.amdhsa_system_sgpr_workgroup_info 0
		.amdhsa_system_vgpr_workitem_id 1
		.amdhsa_next_free_vgpr 24
		.amdhsa_next_free_sgpr 44
		.amdhsa_accum_offset 24
		.amdhsa_reserve_vcc 1
		.amdhsa_reserve_flat_scratch 0
		.amdhsa_float_round_mode_32 0
		.amdhsa_float_round_mode_16_64 0
		.amdhsa_float_denorm_mode_32 3
		.amdhsa_float_denorm_mode_16_64 3
		.amdhsa_dx10_clamp 1
		.amdhsa_ieee_mode 1
		.amdhsa_fp16_overflow 0
		.amdhsa_tg_split 0
		.amdhsa_exception_fp_ieee_invalid_op 0
		.amdhsa_exception_fp_denorm_src 0
		.amdhsa_exception_fp_ieee_div_zero 0
		.amdhsa_exception_fp_ieee_overflow 0
		.amdhsa_exception_fp_ieee_underflow 0
		.amdhsa_exception_fp_ieee_inexact 0
		.amdhsa_exception_int_div_zero 0
	.end_amdhsa_kernel
	.section	.text._ZN9rocsolver6v33100L11gemm_kernelI19rocblas_complex_numIdElPKS3_PKPS3_S8_S8_EEvT0_S9_S9_T1_bT2_lS9_S9_lbT3_lS9_S9_lSA_T4_lS9_S9_l,"axG",@progbits,_ZN9rocsolver6v33100L11gemm_kernelI19rocblas_complex_numIdElPKS3_PKPS3_S8_S8_EEvT0_S9_S9_T1_bT2_lS9_S9_lbT3_lS9_S9_lSA_T4_lS9_S9_l,comdat
.Lfunc_end39:
	.size	_ZN9rocsolver6v33100L11gemm_kernelI19rocblas_complex_numIdElPKS3_PKPS3_S8_S8_EEvT0_S9_S9_T1_bT2_lS9_S9_lbT3_lS9_S9_lSA_T4_lS9_S9_l, .Lfunc_end39-_ZN9rocsolver6v33100L11gemm_kernelI19rocblas_complex_numIdElPKS3_PKPS3_S8_S8_EEvT0_S9_S9_T1_bT2_lS9_S9_lbT3_lS9_S9_lSA_T4_lS9_S9_l
                                        ; -- End function
	.section	.AMDGPU.csdata,"",@progbits
; Kernel info:
; codeLenInByte = 844
; NumSgprs: 48
; NumVgprs: 24
; NumAgprs: 0
; TotalNumVgprs: 24
; ScratchSize: 0
; MemoryBound: 0
; FloatMode: 240
; IeeeMode: 1
; LDSByteSize: 0 bytes/workgroup (compile time only)
; SGPRBlocks: 5
; VGPRBlocks: 2
; NumSGPRsForWavesPerEU: 48
; NumVGPRsForWavesPerEU: 24
; AccumOffset: 24
; Occupancy: 8
; WaveLimiterHint : 1
; COMPUTE_PGM_RSRC2:SCRATCH_EN: 0
; COMPUTE_PGM_RSRC2:USER_SGPR: 6
; COMPUTE_PGM_RSRC2:TRAP_HANDLER: 0
; COMPUTE_PGM_RSRC2:TGID_X_EN: 1
; COMPUTE_PGM_RSRC2:TGID_Y_EN: 1
; COMPUTE_PGM_RSRC2:TGID_Z_EN: 1
; COMPUTE_PGM_RSRC2:TIDIG_COMP_CNT: 1
; COMPUTE_PGM_RSRC3_GFX90A:ACCUM_OFFSET: 5
; COMPUTE_PGM_RSRC3_GFX90A:TG_SPLIT: 0
	.section	.text._ZN9rocsolver6v33100L11gemm_kernelI19rocblas_complex_numIdElS3_PKPS3_S6_S6_EEvT0_S7_S7_T1_bT2_lS7_S7_lbT3_lS7_S7_lS8_T4_lS7_S7_l,"axG",@progbits,_ZN9rocsolver6v33100L11gemm_kernelI19rocblas_complex_numIdElS3_PKPS3_S6_S6_EEvT0_S7_S7_T1_bT2_lS7_S7_lbT3_lS7_S7_lS8_T4_lS7_S7_l,comdat
	.globl	_ZN9rocsolver6v33100L11gemm_kernelI19rocblas_complex_numIdElS3_PKPS3_S6_S6_EEvT0_S7_S7_T1_bT2_lS7_S7_lbT3_lS7_S7_lS8_T4_lS7_S7_l ; -- Begin function _ZN9rocsolver6v33100L11gemm_kernelI19rocblas_complex_numIdElS3_PKPS3_S6_S6_EEvT0_S7_S7_T1_bT2_lS7_S7_lbT3_lS7_S7_lS8_T4_lS7_S7_l
	.p2align	8
	.type	_ZN9rocsolver6v33100L11gemm_kernelI19rocblas_complex_numIdElS3_PKPS3_S6_S6_EEvT0_S7_S7_T1_bT2_lS7_S7_lbT3_lS7_S7_lS8_T4_lS7_S7_l,@function
_ZN9rocsolver6v33100L11gemm_kernelI19rocblas_complex_numIdElS3_PKPS3_S6_S6_EEvT0_S7_S7_T1_bT2_lS7_S7_lbT3_lS7_S7_lS8_T4_lS7_S7_l: ; @_ZN9rocsolver6v33100L11gemm_kernelI19rocblas_complex_numIdElS3_PKPS3_S6_S6_EEvT0_S7_S7_T1_bT2_lS7_S7_lbT3_lS7_S7_lS8_T4_lS7_S7_l
; %bb.0:
	s_load_dword s0, s[4:5], 0xcc
	s_load_dwordx8 s[12:19], s[4:5], 0x0
	v_and_b32_e32 v4, 0x3ff, v0
	v_mov_b32_e32 v5, 0
	v_mov_b32_e32 v1, s6
	s_waitcnt lgkmcnt(0)
	s_lshr_b32 s2, s0, 16
	s_and_b32 s0, s0, 0xffff
	v_mad_u64_u32 v[2:3], s[0:1], s0, v1, v[4:5]
	v_bfe_u32 v4, v0, 10, 10
	v_mov_b32_e32 v0, s7
	v_mad_u64_u32 v[0:1], s[0:1], s2, v0, v[4:5]
	v_cmp_gt_i64_e32 vcc, s[12:13], v[2:3]
	v_cmp_gt_i64_e64 s[0:1], s[14:15], v[0:1]
	s_mov_b32 s9, 0
	s_and_b64 s[0:1], vcc, s[0:1]
	s_and_saveexec_b64 s[2:3], s[0:1]
	s_cbranch_execz .LBB40_5
; %bb.1:
	s_load_dwordx8 s[20:27], s[4:5], 0x88
	s_load_dwordx2 s[6:7], s[4:5], 0x20
	s_load_dwordx4 s[28:31], s[4:5], 0xa8
	s_lshl_b64 s[0:1], s[8:9], 3
	v_cmp_lt_i64_e64 s[2:3], s[16:17], 1
	s_waitcnt lgkmcnt(0)
	s_add_u32 s8, s24, s0
	s_addc_u32 s9, s25, s1
	s_load_dwordx2 s[24:25], s[8:9], 0x0
	v_pk_mov_b32 v[4:5], 0, 0
	s_and_b64 vcc, exec, s[2:3]
	v_pk_mov_b32 v[6:7], v[4:5], v[4:5] op_sel:[0,1]
	s_cbranch_vccnz .LBB40_4
; %bb.2:
	s_load_dwordx8 s[36:43], s[4:5], 0x30
	s_load_dword s33, s[4:5], 0x28
	s_load_dwordx8 s[8:15], s[4:5], 0x60
	s_load_dword s34, s[4:5], 0x58
	s_waitcnt lgkmcnt(0)
	s_add_u32 s2, s36, s0
	s_addc_u32 s3, s37, s1
	s_load_dwordx2 s[2:3], s[2:3], 0x0
	s_add_u32 s0, s8, s0
	s_addc_u32 s1, s9, s1
	s_bitcmp1_b32 s33, 0
	s_cselect_b64 vcc, -1, 0
	s_bitcmp1_b32 s34, 0
	v_mad_u64_u32 v[4:5], s[4:5], s40, v2, 0
	s_load_dwordx2 s[8:9], s[0:1], 0x0
	s_cselect_b64 s[0:1], -1, 0
	v_mul_lo_u32 v6, s41, v2
	v_mul_lo_u32 v7, s40, v3
	s_lshl_b64 s[4:5], s[38:39], 4
	v_add3_u32 v5, v5, v7, v6
	s_waitcnt lgkmcnt(0)
	s_add_u32 s2, s2, s4
	v_lshlrev_b64 v[4:5], 4, v[4:5]
	s_addc_u32 s3, s3, s5
	v_mov_b32_e32 v6, s3
	v_add_co_u32_e64 v4, s[2:3], s2, v4
	v_addc_co_u32_e64 v5, s[2:3], v6, v5, s[2:3]
	v_add_co_u32_e64 v8, s[2:3], 8, v4
	v_addc_co_u32_e64 v9, s[2:3], 0, v5, s[2:3]
	v_mad_u64_u32 v[4:5], s[2:3], s14, v0, 0
	s_lshl_b64 s[4:5], s[42:43], 4
	v_mul_lo_u32 v6, s15, v0
	v_mul_lo_u32 v7, s14, v1
	s_lshl_b64 s[2:3], s[10:11], 4
	v_add3_u32 v5, v5, v7, v6
	s_add_u32 s2, s8, s2
	v_lshlrev_b64 v[4:5], 4, v[4:5]
	s_addc_u32 s3, s9, s3
	v_mov_b32_e32 v6, s3
	v_add_co_u32_e64 v4, s[2:3], s2, v4
	v_addc_co_u32_e64 v5, s[2:3], v6, v5, s[2:3]
	v_add_co_u32_e64 v10, s[2:3], 8, v4
	v_addc_co_u32_e64 v11, s[2:3], 0, v5, s[2:3]
	s_lshl_b64 s[8:9], s[12:13], 4
	v_pk_mov_b32 v[4:5], 0, 0
	v_mov_b32_e32 v12, s5
	v_mov_b32_e32 v13, s9
	v_pk_mov_b32 v[6:7], v[4:5], v[4:5] op_sel:[0,1]
.LBB40_3:                               ; =>This Inner Loop Header: Depth=1
	global_load_dwordx4 v[14:17], v[8:9], off offset:-8
	global_load_dwordx4 v[18:21], v[10:11], off offset:-8
	v_add_co_u32_e64 v8, s[2:3], s4, v8
	s_add_u32 s16, s16, -1
	v_addc_co_u32_e64 v9, s[2:3], v9, v12, s[2:3]
	v_add_co_u32_e64 v10, s[2:3], s8, v10
	s_addc_u32 s17, s17, -1
	v_addc_co_u32_e64 v11, s[2:3], v11, v13, s[2:3]
	s_cmp_eq_u64 s[16:17], 0
	s_waitcnt vmcnt(1)
	v_xor_b32_e32 v22, 0x80000000, v17
	s_waitcnt vmcnt(0)
	v_xor_b32_e32 v23, 0x80000000, v21
	v_cndmask_b32_e32 v17, v17, v22, vcc
	v_cndmask_b32_e64 v21, v21, v23, s[0:1]
	v_mul_f64 v[22:23], v[16:17], v[20:21]
	v_mul_f64 v[16:17], v[16:17], v[18:19]
	v_fma_f64 v[18:19], v[14:15], v[18:19], -v[22:23]
	v_fmac_f64_e32 v[16:17], v[14:15], v[20:21]
	v_add_f64 v[6:7], v[6:7], v[18:19]
	v_add_f64 v[4:5], v[4:5], v[16:17]
	s_cbranch_scc0 .LBB40_3
.LBB40_4:
	s_lshl_b64 s[0:1], s[26:27], 4
	s_waitcnt lgkmcnt(0)
	s_add_u32 s2, s24, s0
	s_addc_u32 s3, s25, s1
	v_mul_lo_u32 v8, v3, s28
	v_mul_lo_u32 v9, v2, s29
	v_mad_u64_u32 v[2:3], s[0:1], v2, s28, 0
	v_add3_u32 v3, v3, v9, v8
	v_mul_lo_u32 v8, v1, s30
	v_mul_lo_u32 v9, v0, s31
	v_mad_u64_u32 v[0:1], s[0:1], v0, s30, 0
	v_lshlrev_b64 v[2:3], 4, v[2:3]
	v_add3_u32 v1, v1, v9, v8
	v_mov_b32_e32 v8, s3
	v_add_co_u32_e32 v2, vcc, s2, v2
	v_addc_co_u32_e32 v3, vcc, v8, v3, vcc
	v_lshlrev_b64 v[0:1], 4, v[0:1]
	v_add_co_u32_e32 v8, vcc, v2, v0
	v_addc_co_u32_e32 v9, vcc, v3, v1, vcc
	global_load_dwordx4 v[0:3], v[8:9], off
	v_mul_f64 v[10:11], s[6:7], v[4:5]
	v_mul_f64 v[4:5], s[18:19], v[4:5]
	v_fma_f64 v[10:11], s[18:19], v[6:7], -v[10:11]
	v_fmac_f64_e32 v[4:5], s[6:7], v[6:7]
	s_waitcnt vmcnt(0)
	v_mul_f64 v[6:7], s[22:23], v[2:3]
	v_mul_f64 v[2:3], s[20:21], v[2:3]
	v_fma_f64 v[6:7], s[20:21], v[0:1], -v[6:7]
	v_fmac_f64_e32 v[2:3], s[22:23], v[0:1]
	v_add_f64 v[0:1], v[10:11], v[6:7]
	v_add_f64 v[2:3], v[4:5], v[2:3]
	global_store_dwordx4 v[8:9], v[0:3], off
.LBB40_5:
	s_endpgm
	.section	.rodata,"a",@progbits
	.p2align	6, 0x0
	.amdhsa_kernel _ZN9rocsolver6v33100L11gemm_kernelI19rocblas_complex_numIdElS3_PKPS3_S6_S6_EEvT0_S7_S7_T1_bT2_lS7_S7_lbT3_lS7_S7_lS8_T4_lS7_S7_l
		.amdhsa_group_segment_fixed_size 0
		.amdhsa_private_segment_fixed_size 0
		.amdhsa_kernarg_size 448
		.amdhsa_user_sgpr_count 6
		.amdhsa_user_sgpr_private_segment_buffer 1
		.amdhsa_user_sgpr_dispatch_ptr 0
		.amdhsa_user_sgpr_queue_ptr 0
		.amdhsa_user_sgpr_kernarg_segment_ptr 1
		.amdhsa_user_sgpr_dispatch_id 0
		.amdhsa_user_sgpr_flat_scratch_init 0
		.amdhsa_user_sgpr_kernarg_preload_length 0
		.amdhsa_user_sgpr_kernarg_preload_offset 0
		.amdhsa_user_sgpr_private_segment_size 0
		.amdhsa_uses_dynamic_stack 0
		.amdhsa_system_sgpr_private_segment_wavefront_offset 0
		.amdhsa_system_sgpr_workgroup_id_x 1
		.amdhsa_system_sgpr_workgroup_id_y 1
		.amdhsa_system_sgpr_workgroup_id_z 1
		.amdhsa_system_sgpr_workgroup_info 0
		.amdhsa_system_vgpr_workitem_id 1
		.amdhsa_next_free_vgpr 24
		.amdhsa_next_free_sgpr 44
		.amdhsa_accum_offset 24
		.amdhsa_reserve_vcc 1
		.amdhsa_reserve_flat_scratch 0
		.amdhsa_float_round_mode_32 0
		.amdhsa_float_round_mode_16_64 0
		.amdhsa_float_denorm_mode_32 3
		.amdhsa_float_denorm_mode_16_64 3
		.amdhsa_dx10_clamp 1
		.amdhsa_ieee_mode 1
		.amdhsa_fp16_overflow 0
		.amdhsa_tg_split 0
		.amdhsa_exception_fp_ieee_invalid_op 0
		.amdhsa_exception_fp_denorm_src 0
		.amdhsa_exception_fp_ieee_div_zero 0
		.amdhsa_exception_fp_ieee_overflow 0
		.amdhsa_exception_fp_ieee_underflow 0
		.amdhsa_exception_fp_ieee_inexact 0
		.amdhsa_exception_int_div_zero 0
	.end_amdhsa_kernel
	.section	.text._ZN9rocsolver6v33100L11gemm_kernelI19rocblas_complex_numIdElS3_PKPS3_S6_S6_EEvT0_S7_S7_T1_bT2_lS7_S7_lbT3_lS7_S7_lS8_T4_lS7_S7_l,"axG",@progbits,_ZN9rocsolver6v33100L11gemm_kernelI19rocblas_complex_numIdElS3_PKPS3_S6_S6_EEvT0_S7_S7_T1_bT2_lS7_S7_lbT3_lS7_S7_lS8_T4_lS7_S7_l,comdat
.Lfunc_end40:
	.size	_ZN9rocsolver6v33100L11gemm_kernelI19rocblas_complex_numIdElS3_PKPS3_S6_S6_EEvT0_S7_S7_T1_bT2_lS7_S7_lbT3_lS7_S7_lS8_T4_lS7_S7_l, .Lfunc_end40-_ZN9rocsolver6v33100L11gemm_kernelI19rocblas_complex_numIdElS3_PKPS3_S6_S6_EEvT0_S7_S7_T1_bT2_lS7_S7_lbT3_lS7_S7_lS8_T4_lS7_S7_l
                                        ; -- End function
	.section	.AMDGPU.csdata,"",@progbits
; Kernel info:
; codeLenInByte = 836
; NumSgprs: 48
; NumVgprs: 24
; NumAgprs: 0
; TotalNumVgprs: 24
; ScratchSize: 0
; MemoryBound: 0
; FloatMode: 240
; IeeeMode: 1
; LDSByteSize: 0 bytes/workgroup (compile time only)
; SGPRBlocks: 5
; VGPRBlocks: 2
; NumSGPRsForWavesPerEU: 48
; NumVGPRsForWavesPerEU: 24
; AccumOffset: 24
; Occupancy: 8
; WaveLimiterHint : 1
; COMPUTE_PGM_RSRC2:SCRATCH_EN: 0
; COMPUTE_PGM_RSRC2:USER_SGPR: 6
; COMPUTE_PGM_RSRC2:TRAP_HANDLER: 0
; COMPUTE_PGM_RSRC2:TGID_X_EN: 1
; COMPUTE_PGM_RSRC2:TGID_Y_EN: 1
; COMPUTE_PGM_RSRC2:TGID_Z_EN: 1
; COMPUTE_PGM_RSRC2:TIDIG_COMP_CNT: 1
; COMPUTE_PGM_RSRC3_GFX90A:ACCUM_OFFSET: 5
; COMPUTE_PGM_RSRC3_GFX90A:TG_SPLIT: 0
	.section	.text._ZN9rocsolver6v33100L9get_arrayI19rocblas_complex_numIdElEEvPPT_S5_lT0_,"axG",@progbits,_ZN9rocsolver6v33100L9get_arrayI19rocblas_complex_numIdElEEvPPT_S5_lT0_,comdat
	.globl	_ZN9rocsolver6v33100L9get_arrayI19rocblas_complex_numIdElEEvPPT_S5_lT0_ ; -- Begin function _ZN9rocsolver6v33100L9get_arrayI19rocblas_complex_numIdElEEvPPT_S5_lT0_
	.p2align	8
	.type	_ZN9rocsolver6v33100L9get_arrayI19rocblas_complex_numIdElEEvPPT_S5_lT0_,@function
_ZN9rocsolver6v33100L9get_arrayI19rocblas_complex_numIdElEEvPPT_S5_lT0_: ; @_ZN9rocsolver6v33100L9get_arrayI19rocblas_complex_numIdElEEvPPT_S5_lT0_
; %bb.0:
	s_load_dword s0, s[4:5], 0x2c
	s_load_dwordx8 s[8:15], s[4:5], 0x0
	v_mov_b32_e32 v1, 0
	v_mov_b32_e32 v2, s6
	s_waitcnt lgkmcnt(0)
	s_and_b32 s0, s0, 0xffff
	v_mad_u64_u32 v[0:1], s[0:1], s0, v2, v[0:1]
	v_cmp_gt_i64_e32 vcc, s[14:15], v[0:1]
	s_and_saveexec_b64 s[0:1], vcc
	s_cbranch_execz .LBB41_2
; %bb.1:
	v_mul_lo_u32 v4, v1, s12
	v_mul_lo_u32 v5, v0, s13
	v_mad_u64_u32 v[2:3], s[0:1], v0, s12, 0
	v_add3_u32 v3, v3, v5, v4
	v_lshlrev_b64 v[2:3], 4, v[2:3]
	v_mov_b32_e32 v4, s11
	v_add_co_u32_e32 v2, vcc, s10, v2
	v_addc_co_u32_e32 v3, vcc, v4, v3, vcc
	v_lshlrev_b64 v[0:1], 3, v[0:1]
	v_mov_b32_e32 v4, s9
	v_add_co_u32_e32 v0, vcc, s8, v0
	v_addc_co_u32_e32 v1, vcc, v4, v1, vcc
	global_store_dwordx2 v[0:1], v[2:3], off
.LBB41_2:
	s_endpgm
	.section	.rodata,"a",@progbits
	.p2align	6, 0x0
	.amdhsa_kernel _ZN9rocsolver6v33100L9get_arrayI19rocblas_complex_numIdElEEvPPT_S5_lT0_
		.amdhsa_group_segment_fixed_size 0
		.amdhsa_private_segment_fixed_size 0
		.amdhsa_kernarg_size 288
		.amdhsa_user_sgpr_count 6
		.amdhsa_user_sgpr_private_segment_buffer 1
		.amdhsa_user_sgpr_dispatch_ptr 0
		.amdhsa_user_sgpr_queue_ptr 0
		.amdhsa_user_sgpr_kernarg_segment_ptr 1
		.amdhsa_user_sgpr_dispatch_id 0
		.amdhsa_user_sgpr_flat_scratch_init 0
		.amdhsa_user_sgpr_kernarg_preload_length 0
		.amdhsa_user_sgpr_kernarg_preload_offset 0
		.amdhsa_user_sgpr_private_segment_size 0
		.amdhsa_uses_dynamic_stack 0
		.amdhsa_system_sgpr_private_segment_wavefront_offset 0
		.amdhsa_system_sgpr_workgroup_id_x 1
		.amdhsa_system_sgpr_workgroup_id_y 0
		.amdhsa_system_sgpr_workgroup_id_z 0
		.amdhsa_system_sgpr_workgroup_info 0
		.amdhsa_system_vgpr_workitem_id 0
		.amdhsa_next_free_vgpr 6
		.amdhsa_next_free_sgpr 16
		.amdhsa_accum_offset 8
		.amdhsa_reserve_vcc 1
		.amdhsa_reserve_flat_scratch 0
		.amdhsa_float_round_mode_32 0
		.amdhsa_float_round_mode_16_64 0
		.amdhsa_float_denorm_mode_32 3
		.amdhsa_float_denorm_mode_16_64 3
		.amdhsa_dx10_clamp 1
		.amdhsa_ieee_mode 1
		.amdhsa_fp16_overflow 0
		.amdhsa_tg_split 0
		.amdhsa_exception_fp_ieee_invalid_op 0
		.amdhsa_exception_fp_denorm_src 0
		.amdhsa_exception_fp_ieee_div_zero 0
		.amdhsa_exception_fp_ieee_overflow 0
		.amdhsa_exception_fp_ieee_underflow 0
		.amdhsa_exception_fp_ieee_inexact 0
		.amdhsa_exception_int_div_zero 0
	.end_amdhsa_kernel
	.section	.text._ZN9rocsolver6v33100L9get_arrayI19rocblas_complex_numIdElEEvPPT_S5_lT0_,"axG",@progbits,_ZN9rocsolver6v33100L9get_arrayI19rocblas_complex_numIdElEEvPPT_S5_lT0_,comdat
.Lfunc_end41:
	.size	_ZN9rocsolver6v33100L9get_arrayI19rocblas_complex_numIdElEEvPPT_S5_lT0_, .Lfunc_end41-_ZN9rocsolver6v33100L9get_arrayI19rocblas_complex_numIdElEEvPPT_S5_lT0_
                                        ; -- End function
	.section	.AMDGPU.csdata,"",@progbits
; Kernel info:
; codeLenInByte = 140
; NumSgprs: 20
; NumVgprs: 6
; NumAgprs: 0
; TotalNumVgprs: 6
; ScratchSize: 0
; MemoryBound: 0
; FloatMode: 240
; IeeeMode: 1
; LDSByteSize: 0 bytes/workgroup (compile time only)
; SGPRBlocks: 2
; VGPRBlocks: 0
; NumSGPRsForWavesPerEU: 20
; NumVGPRsForWavesPerEU: 6
; AccumOffset: 8
; Occupancy: 8
; WaveLimiterHint : 0
; COMPUTE_PGM_RSRC2:SCRATCH_EN: 0
; COMPUTE_PGM_RSRC2:USER_SGPR: 6
; COMPUTE_PGM_RSRC2:TRAP_HANDLER: 0
; COMPUTE_PGM_RSRC2:TGID_X_EN: 1
; COMPUTE_PGM_RSRC2:TGID_Y_EN: 0
; COMPUTE_PGM_RSRC2:TGID_Z_EN: 0
; COMPUTE_PGM_RSRC2:TIDIG_COMP_CNT: 0
; COMPUTE_PGM_RSRC3_GFX90A:ACCUM_OFFSET: 1
; COMPUTE_PGM_RSRC3_GFX90A:TG_SPLIT: 0
	.section	.text._ZN9rocsolver6v33100L16mfma_gemm_kernelI19rocblas_complex_numIdElPKS3_PS3_PKS6_S8_EEv18rocblas_operation_S9_T0_SA_SA_T1_T2_lSA_SA_lT3_lSA_SA_lSB_T4_lSA_SA_l,"axG",@progbits,_ZN9rocsolver6v33100L16mfma_gemm_kernelI19rocblas_complex_numIdElPKS3_PS3_PKS6_S8_EEv18rocblas_operation_S9_T0_SA_SA_T1_T2_lSA_SA_lT3_lSA_SA_lSB_T4_lSA_SA_l,comdat
	.globl	_ZN9rocsolver6v33100L16mfma_gemm_kernelI19rocblas_complex_numIdElPKS3_PS3_PKS6_S8_EEv18rocblas_operation_S9_T0_SA_SA_T1_T2_lSA_SA_lT3_lSA_SA_lSB_T4_lSA_SA_l ; -- Begin function _ZN9rocsolver6v33100L16mfma_gemm_kernelI19rocblas_complex_numIdElPKS3_PS3_PKS6_S8_EEv18rocblas_operation_S9_T0_SA_SA_T1_T2_lSA_SA_lT3_lSA_SA_lSB_T4_lSA_SA_l
	.p2align	8
	.type	_ZN9rocsolver6v33100L16mfma_gemm_kernelI19rocblas_complex_numIdElPKS3_PS3_PKS6_S8_EEv18rocblas_operation_S9_T0_SA_SA_T1_T2_lSA_SA_lT3_lSA_SA_lSB_T4_lSA_SA_l,@function
_ZN9rocsolver6v33100L16mfma_gemm_kernelI19rocblas_complex_numIdElPKS3_PS3_PKS6_S8_EEv18rocblas_operation_S9_T0_SA_SA_T1_T2_lSA_SA_lT3_lSA_SA_lSB_T4_lSA_SA_l: ; @_ZN9rocsolver6v33100L16mfma_gemm_kernelI19rocblas_complex_numIdElPKS3_PS3_PKS6_S8_EEv18rocblas_operation_S9_T0_SA_SA_T1_T2_lSA_SA_lT3_lSA_SA_lSB_T4_lSA_SA_l
; %bb.0:
	s_load_dword s0, s[4:5], 0xb4
	s_load_dwordx16 s[12:27], s[4:5], 0x8
	v_and_b32_e32 v4, 0x3ff, v0
	v_mov_b32_e32 v9, 0
	v_lshrrev_b32_e32 v8, 6, v4
	s_waitcnt lgkmcnt(0)
	s_lshr_b32 s2, s0, 16
	s_bfe_u32 s0, s0, 0xa0006
	v_bfe_u32 v0, v0, 10, 10
	v_mov_b32_e32 v1, v9
	v_mov_b32_e32 v2, s6
	v_mov_b32_e32 v5, s7
	v_mad_u64_u32 v[2:3], s[0:1], s0, v2, v[8:9]
	v_mad_u64_u32 v[0:1], s[0:1], s2, v5, v[0:1]
	v_lshlrev_b64 v[12:13], 4, v[2:3]
	v_lshlrev_b64 v[14:15], 4, v[0:1]
	v_cmp_gt_i64_e32 vcc, s[12:13], v[12:13]
	v_cmp_gt_i64_e64 s[0:1], s[14:15], v[14:15]
	s_and_b64 s[0:1], vcc, s[0:1]
	s_and_saveexec_b64 s[2:3], s[0:1]
	s_cbranch_execz .LBB42_36
; %bb.1:
	s_load_dwordx8 s[36:43], s[4:5], 0x78
	s_load_dwordx2 s[34:35], s[4:5], 0x98
	v_add_co_u32_e32 v6, vcc, 16, v12
	v_addc_co_u32_e32 v7, vcc, 0, v13, vcc
	s_and_b32 s0, s12, 15
	s_mov_b32 s9, 0
	v_mov_b32_e32 v5, s0
	v_cmp_lt_u64_e32 vcc, s[12:13], v[6:7]
	s_and_b32 s0, s14, 15
	s_lshl_b64 s[2:3], s[8:9], 3
	v_cndmask_b32_e32 v8, 16, v5, vcc
	v_add_co_u32_e32 v6, vcc, 16, v14
	v_mov_b32_e32 v5, s0
	s_waitcnt lgkmcnt(0)
	s_add_u32 s0, s38, s2
	v_addc_co_u32_e32 v7, vcc, 0, v15, vcc
	s_addc_u32 s1, s39, s3
	v_cmp_lt_u64_e32 vcc, s[14:15], v[6:7]
	s_load_dwordx4 s[52:55], s[18:19], 0x0
	s_load_dwordx4 s[28:31], s[36:37], 0x0
	s_load_dwordx2 s[14:15], s[0:1], 0x0
	v_cndmask_b32_e32 v16, 16, v5, vcc
	v_mov_b32_e32 v17, v9
	v_bfe_u32 v18, v4, 2, 4
	v_mov_b32_e32 v19, v9
	v_cmp_lt_i64_e64 s[0:1], s[16:17], 1
	v_pk_mov_b32 v[36:37], 0, 0
	v_and_b32_e32 v29, 63, v4
	v_and_b32_e32 v10, 3, v4
	v_mov_b32_e32 v11, v9
	s_mov_b64 s[18:19], 0
	s_and_b64 vcc, exec, s[0:1]
	v_cmp_lt_u64_e64 s[0:1], v[18:19], v[16:17]
	v_mbcnt_lo_u32_b32 v46, -1, 0
	v_pk_mov_b32 v[38:39], v[36:37], v[36:37] op_sel:[0,1]
	v_pk_mov_b32 v[20:21], v[36:37], v[36:37] op_sel:[0,1]
	v_pk_mov_b32 v[22:23], v[36:37], v[36:37] op_sel:[0,1]
	v_pk_mov_b32 v[24:25], v[36:37], v[36:37] op_sel:[0,1]
	v_pk_mov_b32 v[26:27], v[36:37], v[36:37] op_sel:[0,1]
	v_pk_mov_b32 v[30:31], v[36:37], v[36:37] op_sel:[0,1]
	v_pk_mov_b32 v[32:33], v[36:37], v[36:37] op_sel:[0,1]
	s_cbranch_vccnz .LBB42_28
; %bb.2:
	s_load_dwordx2 s[10:11], s[4:5], 0x0
	s_load_dwordx8 s[44:51], s[4:5], 0x48
	s_load_dwordx2 s[56:57], s[4:5], 0x68
	v_mov_b32_e32 v5, 0
	v_and_b32_e32 v4, 15, v29
	s_waitcnt lgkmcnt(0)
	s_cmpk_lg_i32 s10, 0x6f
	s_cselect_b64 s[36:37], -1, 0
	s_cmpk_lg_i32 s11, 0x6f
	s_cselect_b64 s[38:39], -1, 0
	s_add_u32 s2, s46, s2
	s_addc_u32 s3, s47, s3
	s_cmpk_eq_i32 s11, 0x6f
	s_cselect_b32 s33, s56, s50
	s_cselect_b32 s60, s57, s51
	s_cmpk_eq_i32 s10, 0x6f
	s_cselect_b32 s9, s24, s26
	s_cselect_b32 s58, s25, s27
	v_lshrrev_b32_e32 v28, 4, v29
	v_cmp_lt_u64_e64 s[4:5], v[4:5], v[8:9]
	v_cmp_lt_u64_e64 s[6:7], v[4:5], v[16:17]
	v_mul_lo_u32 v5, s58, v2
	v_mul_lo_u32 v6, s9, v3
	v_mad_u64_u32 v[2:3], s[58:59], s9, v2, 0
	v_add3_u32 v3, v3, v6, v5
	v_mad_u64_u32 v[6:7], s[58:59], s26, v28, 0
	v_mov_b32_e32 v20, v7
	v_mad_u64_u32 v[20:21], s[58:59], s27, v28, v[20:21]
	s_cmpk_eq_i32 s10, 0x71
	v_mov_b32_e32 v7, v20
	s_cselect_b64 s[12:13], -1, 0
	s_cmpk_eq_i32 s11, 0x71
	v_lshlrev_b64 v[2:3], 8, v[2:3]
	v_lshlrev_b64 v[6:7], 4, v[6:7]
	s_mul_i32 s9, s45, s8
	s_mul_hi_u32 s45, s44, s8
	s_cselect_b64 s[10:11], -1, 0
	v_add_co_u32_e32 v5, vcc, v2, v6
	s_add_i32 s9, s45, s9
	s_mul_i32 s8, s44, s8
	v_addc_co_u32_e32 v6, vcc, v3, v7, vcc
	s_lshl_b64 s[8:9], s[8:9], 4
	v_mov_b32_e32 v23, s9
	v_add_co_u32_e32 v5, vcc, s8, v5
	v_addc_co_u32_e32 v24, vcc, v6, v23, vcc
	v_mad_u64_u32 v[6:7], s[44:45], s24, v4, 0
	v_mov_b32_e32 v20, v7
	v_mad_u64_u32 v[20:21], s[44:45], s25, v4, v[20:21]
	v_mov_b32_e32 v7, v20
	v_lshlrev_b64 v[6:7], 4, v[6:7]
	s_lshl_b64 s[22:23], s[22:23], 4
	v_add_co_u32_e32 v5, vcc, v5, v6
	s_add_u32 s58, s20, s22
	v_addc_co_u32_e32 v6, vcc, v24, v7, vcc
	s_addc_u32 s59, s21, s23
	v_mov_b32_e32 v7, s59
	v_add_co_u32_e32 v5, vcc, s58, v5
	v_addc_co_u32_e32 v6, vcc, v7, v6, vcc
	v_add_co_u32_e32 v34, vcc, 8, v5
	v_addc_co_u32_e32 v35, vcc, 0, v6, vcc
	v_mul_lo_u32 v5, s60, v0
	v_mul_lo_u32 v6, s33, v1
	v_mad_u64_u32 v[0:1], s[22:23], s33, v0, 0
	v_add3_u32 v1, v1, v6, v5
	v_mad_u64_u32 v[6:7], s[22:23], s56, v28, 0
	v_mov_b32_e32 v20, v7
	v_mad_u64_u32 v[20:21], s[22:23], s57, v28, v[20:21]
	v_mov_b32_e32 v7, v20
	v_lshlrev_b64 v[0:1], 8, v[0:1]
	v_lshlrev_b64 v[6:7], 4, v[6:7]
	v_add_co_u32_e32 v21, vcc, v0, v6
	s_load_dwordx2 s[46:47], s[2:3], 0x0
	v_addc_co_u32_e32 v24, vcc, v1, v7, vcc
	v_mad_u64_u32 v[6:7], s[22:23], s50, v4, 0
	v_mov_b32_e32 v20, v7
	v_lshl_or_b32 v22, v4, 2, v28
	v_mad_u64_u32 v[4:5], s[22:23], s51, v4, v[20:21]
	v_mov_b32_e32 v7, v4
	s_lshl_b64 s[20:21], s[26:27], 6
	v_lshlrev_b64 v[4:5], 4, v[6:7]
	s_lshl_b64 s[22:23], s[48:49], 4
	v_add_co_u32_e32 v4, vcc, v21, v4
	s_waitcnt lgkmcnt(0)
	s_add_u32 s33, s46, s22
	v_addc_co_u32_e32 v5, vcc, v24, v5, vcc
	s_addc_u32 s46, s47, s23
	v_mov_b32_e32 v6, s46
	v_add_co_u32_e32 v4, vcc, s33, v4
	v_addc_co_u32_e32 v5, vcc, v6, v5, vcc
	v_add_co_u32_e32 v40, vcc, 8, v4
	v_addc_co_u32_e32 v41, vcc, 0, v5, vcc
	v_mad_u64_u32 v[4:5], s[44:45], s26, v18, 0
	v_mov_b32_e32 v6, v5
	v_mad_u64_u32 v[6:7], s[26:27], s27, v18, v[6:7]
	v_mov_b32_e32 v5, v6
	v_lshlrev_b64 v[4:5], 4, v[4:5]
	v_add_co_u32_e32 v2, vcc, v2, v4
	v_addc_co_u32_e32 v3, vcc, v3, v5, vcc
	v_add_co_u32_e32 v6, vcc, s8, v2
	v_addc_co_u32_e32 v7, vcc, v3, v23, vcc
	v_mad_u64_u32 v[2:3], s[8:9], s24, v10, 0
	v_mov_b32_e32 v4, v3
	v_mad_u64_u32 v[4:5], s[8:9], s25, v10, v[4:5]
	v_mov_b32_e32 v3, v4
	v_lshlrev_b64 v[2:3], 4, v[2:3]
	v_add_co_u32_e32 v2, vcc, v6, v2
	v_addc_co_u32_e32 v3, vcc, v7, v3, vcc
	v_mov_b32_e32 v4, s59
	v_add_co_u32_e32 v2, vcc, s58, v2
	v_addc_co_u32_e32 v3, vcc, v4, v3, vcc
	v_add_co_u32_e32 v42, vcc, 8, v2
	v_addc_co_u32_e32 v43, vcc, 0, v3, vcc
	v_mad_u64_u32 v[2:3], s[8:9], s56, v18, 0
	v_mov_b32_e32 v4, v3
	v_mad_u64_u32 v[4:5], s[8:9], s57, v18, v[4:5]
	v_mov_b32_e32 v3, v4
	v_lshlrev_b64 v[2:3], 4, v[2:3]
	v_add_co_u32_e32 v4, vcc, v0, v2
	v_addc_co_u32_e32 v5, vcc, v1, v3, vcc
	v_mad_u64_u32 v[0:1], s[8:9], s50, v10, 0
	v_mov_b32_e32 v2, v1
	v_mad_u64_u32 v[2:3], s[8:9], s51, v10, v[2:3]
	v_mov_b32_e32 v1, v2
	v_lshlrev_b64 v[0:1], 4, v[0:1]
	v_add_co_u32_e32 v0, vcc, v4, v0
	v_addc_co_u32_e32 v1, vcc, v5, v1, vcc
	v_mov_b32_e32 v2, s46
	v_add_co_u32_e32 v0, vcc, s33, v0
	v_addc_co_u32_e32 v1, vcc, v2, v1, vcc
	v_add_co_u32_e32 v44, vcc, 8, v0
	v_mbcnt_hi_u32_b32 v0, -1, v46
	v_pk_mov_b32 v[20:21], 0, 0
	v_and_or_b32 v0, v0, 64, v22
	v_cmp_lt_u64_e64 s[2:3], v[18:19], v[8:9]
	s_lshl_b64 s[22:23], s[56:57], 6
	s_lshl_b64 s[24:25], s[24:25], 6
	v_addc_co_u32_e32 v45, vcc, 0, v1, vcc
	s_lshl_b64 s[26:27], s[50:51], 6
	v_lshlrev_b32_e32 v47, 2, v0
	v_pk_mov_b32 v[24:25], v[20:21], v[20:21] op_sel:[0,1]
	v_pk_mov_b32 v[30:31], v[20:21], v[20:21] op_sel:[0,1]
	;; [unrolled: 1-line block ×7, first 2 shown]
	s_branch .LBB42_6
.LBB42_3:                               ;   in Loop: Header=BB42_6 Depth=1
	s_or_b64 exec, exec, s[44:45]
.LBB42_4:                               ;   in Loop: Header=BB42_6 Depth=1
	s_or_b64 exec, exec, s[8:9]
	s_waitcnt vmcnt(0)
	ds_bpermute_b32 v4, v47, v4
	ds_bpermute_b32 v5, v47, v5
	;; [unrolled: 1-line block ×4, first 2 shown]
.LBB42_5:                               ;   in Loop: Header=BB42_6 Depth=1
	s_waitcnt vmcnt(0) lgkmcnt(0)
	v_xor_b32_e32 v48, 0x80000000, v3
	v_cndmask_b32_e64 v3, v3, v48, s[12:13]
	v_cndmask_b32_e64 v2, v2, v2, s[12:13]
	v_xor_b32_e32 v48, 0x80000000, v7
	v_cndmask_b32_e64 v7, v7, v48, s[10:11]
	v_cndmask_b32_e64 v6, v6, v6, s[10:11]
	v_mfma_f64_16x16x4f64 v[48:55], v[0:1], v[4:5], 0
	s_add_u32 s18, s18, 4
	s_addc_u32 s19, s19, 0
	v_add_co_u32_e64 v34, s[8:9], s20, v34
	v_mfma_f64_16x16x4f64 v[56:63], v[2:3], v[6:7], 0
	s_nop 7
	s_nop 2
	v_add_f64 v[54:55], v[54:55], -v[62:63]
	v_pk_mov_b32 v[62:63], s[16:17], s[16:17] op_sel:[0,1]
	v_cmp_ge_i64_e32 vcc, s[18:19], v[62:63]
	v_mfma_f64_16x16x4f64 v[62:69], v[0:1], v[6:7], 0
	s_and_b64 vcc, exec, vcc
	v_add_f64 v[52:53], v[52:53], -v[60:61]
	v_add_f64 v[50:51], v[50:51], -v[58:59]
	;; [unrolled: 1-line block ×3, first 2 shown]
	v_add_f64 v[36:37], v[36:37], v[48:49]
	v_add_f64 v[32:33], v[32:33], v[50:51]
	;; [unrolled: 1-line block ×4, first 2 shown]
	v_mfma_f64_16x16x4f64 v[0:7], v[2:3], v[4:5], 0
	s_nop 7
	s_nop 2
	v_add_f64 v[0:1], v[62:63], v[0:1]
	v_add_f64 v[38:39], v[38:39], v[0:1]
	v_mov_b32_e32 v0, s21
	v_addc_co_u32_e64 v35, s[8:9], v35, v0, s[8:9]
	v_mov_b32_e32 v0, s23
	v_add_co_u32_e64 v40, s[8:9], s22, v40
	v_addc_co_u32_e64 v41, s[8:9], v41, v0, s[8:9]
	v_mov_b32_e32 v0, s25
	v_add_co_u32_e64 v42, s[8:9], s24, v42
	v_addc_co_u32_e64 v43, s[8:9], v43, v0, s[8:9]
	v_add_f64 v[6:7], v[68:69], v[6:7]
	v_add_f64 v[4:5], v[66:67], v[4:5]
	;; [unrolled: 1-line block ×3, first 2 shown]
	v_mov_b32_e32 v0, s27
	v_add_co_u32_e64 v44, s[8:9], s26, v44
	v_add_f64 v[30:31], v[30:31], v[2:3]
	v_add_f64 v[24:25], v[24:25], v[4:5]
	;; [unrolled: 1-line block ×3, first 2 shown]
	v_addc_co_u32_e64 v45, s[8:9], v45, v0, s[8:9]
	s_cbranch_vccnz .LBB42_28
.LBB42_6:                               ; =>This Inner Loop Header: Depth=1
	s_and_b64 vcc, exec, s[36:37]
	s_cbranch_vccz .LBB42_18
; %bb.7:                                ;   in Loop: Header=BB42_6 Depth=1
	v_pk_mov_b32 v[0:1], 0, 0
	s_mov_b64 s[8:9], 0
	v_pk_mov_b32 v[2:3], v[0:1], v[0:1] op_sel:[0,1]
	s_and_saveexec_b64 s[44:45], s[2:3]
	s_cbranch_execz .LBB42_11
; %bb.8:                                ;   in Loop: Header=BB42_6 Depth=1
	v_mov_b32_e32 v1, s19
	v_add_co_u32_e32 v0, vcc, s18, v10
	v_addc_co_u32_e32 v1, vcc, 0, v1, vcc
	v_pk_mov_b32 v[2:3], 0, 0
	v_cmp_gt_i64_e32 vcc, s[16:17], v[0:1]
	v_pk_mov_b32 v[0:1], v[2:3], v[2:3] op_sel:[0,1]
	s_and_saveexec_b64 s[46:47], vcc
	s_cbranch_execz .LBB42_10
; %bb.9:                                ;   in Loop: Header=BB42_6 Depth=1
	global_load_dwordx4 v[0:3], v[42:43], off offset:-8
.LBB42_10:                              ;   in Loop: Header=BB42_6 Depth=1
	s_or_b64 exec, exec, s[46:47]
.LBB42_11:                              ;   in Loop: Header=BB42_6 Depth=1
	s_or_b64 exec, exec, s[44:45]
	s_waitcnt vmcnt(0)
	ds_bpermute_b32 v0, v47, v0
	ds_bpermute_b32 v1, v47, v1
	;; [unrolled: 1-line block ×4, first 2 shown]
	s_and_b64 vcc, exec, s[8:9]
	s_cbranch_vccnz .LBB42_19
.LBB42_12:                              ;   in Loop: Header=BB42_6 Depth=1
	s_and_b64 vcc, exec, s[38:39]
	s_cbranch_vccz .LBB42_24
.LBB42_13:                              ;   in Loop: Header=BB42_6 Depth=1
	v_pk_mov_b32 v[6:7], 0, 0
	s_mov_b64 s[8:9], 0
	v_pk_mov_b32 v[4:5], v[6:7], v[6:7] op_sel:[0,1]
	s_and_saveexec_b64 s[44:45], s[6:7]
	s_cbranch_execz .LBB42_17
; %bb.14:                               ;   in Loop: Header=BB42_6 Depth=1
	v_mov_b32_e32 v5, s19
	v_add_co_u32_e32 v4, vcc, s18, v28
	v_addc_co_u32_e32 v5, vcc, 0, v5, vcc
	v_pk_mov_b32 v[6:7], 0, 0
	v_cmp_gt_i64_e32 vcc, s[16:17], v[4:5]
	v_pk_mov_b32 v[4:5], v[6:7], v[6:7] op_sel:[0,1]
	s_and_saveexec_b64 s[46:47], vcc
	s_cbranch_execz .LBB42_16
; %bb.15:                               ;   in Loop: Header=BB42_6 Depth=1
	global_load_dwordx4 v[4:7], v[40:41], off offset:-8
.LBB42_16:                              ;   in Loop: Header=BB42_6 Depth=1
	s_or_b64 exec, exec, s[46:47]
.LBB42_17:                              ;   in Loop: Header=BB42_6 Depth=1
	s_or_b64 exec, exec, s[44:45]
	s_andn2_b64 vcc, exec, s[8:9]
	s_cbranch_vccnz .LBB42_5
	s_branch .LBB42_25
.LBB42_18:                              ;   in Loop: Header=BB42_6 Depth=1
                                        ; implicit-def: $vgpr2_vgpr3
	s_cbranch_execz .LBB42_12
.LBB42_19:                              ;   in Loop: Header=BB42_6 Depth=1
	s_waitcnt lgkmcnt(0)
	v_pk_mov_b32 v[2:3], 0, 0
	v_pk_mov_b32 v[0:1], v[2:3], v[2:3] op_sel:[0,1]
	s_and_saveexec_b64 s[8:9], s[4:5]
	s_cbranch_execz .LBB42_23
; %bb.20:                               ;   in Loop: Header=BB42_6 Depth=1
	v_mov_b32_e32 v1, s19
	v_add_co_u32_e32 v0, vcc, s18, v28
	v_addc_co_u32_e32 v1, vcc, 0, v1, vcc
	v_pk_mov_b32 v[2:3], 0, 0
	v_cmp_gt_i64_e32 vcc, s[16:17], v[0:1]
	v_pk_mov_b32 v[0:1], v[2:3], v[2:3] op_sel:[0,1]
	s_and_saveexec_b64 s[44:45], vcc
	s_cbranch_execz .LBB42_22
; %bb.21:                               ;   in Loop: Header=BB42_6 Depth=1
	global_load_dwordx4 v[0:3], v[34:35], off offset:-8
.LBB42_22:                              ;   in Loop: Header=BB42_6 Depth=1
	s_or_b64 exec, exec, s[44:45]
.LBB42_23:                              ;   in Loop: Header=BB42_6 Depth=1
	s_or_b64 exec, exec, s[8:9]
	s_and_b64 vcc, exec, s[38:39]
	s_cbranch_vccnz .LBB42_13
.LBB42_24:                              ;   in Loop: Header=BB42_6 Depth=1
                                        ; implicit-def: $vgpr6_vgpr7
.LBB42_25:                              ;   in Loop: Header=BB42_6 Depth=1
	s_waitcnt vmcnt(0)
	v_pk_mov_b32 v[4:5], 0, 0
	v_pk_mov_b32 v[6:7], v[4:5], v[4:5] op_sel:[0,1]
	s_and_saveexec_b64 s[8:9], s[0:1]
	s_cbranch_execz .LBB42_4
; %bb.26:                               ;   in Loop: Header=BB42_6 Depth=1
	v_mov_b32_e32 v5, s19
	v_add_co_u32_e32 v4, vcc, s18, v10
	v_addc_co_u32_e32 v5, vcc, 0, v5, vcc
	v_pk_mov_b32 v[6:7], 0, 0
	v_cmp_gt_i64_e32 vcc, s[16:17], v[4:5]
	v_pk_mov_b32 v[4:5], v[6:7], v[6:7] op_sel:[0,1]
	s_and_saveexec_b64 s[44:45], vcc
	s_cbranch_execz .LBB42_3
; %bb.27:                               ;   in Loop: Header=BB42_6 Depth=1
	global_load_dwordx4 v[4:7], v[44:45], off offset:-8
	s_branch .LBB42_3
.LBB42_28:
	s_lshl_b64 s[0:1], s[40:41], 4
	s_waitcnt lgkmcnt(0)
	s_add_u32 s2, s14, s0
	s_addc_u32 s3, s15, s1
	v_mul_lo_u32 v2, v15, s34
	v_mul_lo_u32 v3, v14, s35
	v_mad_u64_u32 v[0:1], s[0:1], v14, s34, 0
	v_add3_u32 v1, v1, v3, v2
	v_mul_lo_u32 v4, v13, s42
	v_mul_lo_u32 v5, v12, s43
	v_mad_u64_u32 v[2:3], s[0:1], v12, s42, 0
	v_lshlrev_b64 v[0:1], 4, v[0:1]
	v_add3_u32 v3, v3, v5, v4
	v_mov_b32_e32 v4, s3
	v_add_co_u32_e32 v5, vcc, s2, v0
	v_addc_co_u32_e32 v4, vcc, v4, v1, vcc
	v_lshlrev_b64 v[0:1], 4, v[2:3]
	v_add_co_u32_e32 v6, vcc, v5, v0
	v_lshl_or_b32 v0, v29, 4, v18
	v_addc_co_u32_e32 v7, vcc, v4, v1, vcc
	v_mbcnt_hi_u32_b32 v1, -1, v46
	v_and_b32_e32 v0, 63, v0
	v_and_or_b32 v0, v1, 64, v0
	v_lshlrev_b32_e32 v12, 2, v0
	v_mad_u64_u32 v[0:1], s[0:1], v18, s34, 0
	v_mov_b32_e32 v2, v1
	v_mad_u64_u32 v[2:3], s[0:1], v18, s35, v[2:3]
	v_mov_b32_e32 v1, v2
	v_lshlrev_b64 v[4:5], 4, v[0:1]
	ds_bpermute_b32 v0, v12, v36
	ds_bpermute_b32 v1, v12, v37
	;; [unrolled: 1-line block ×4, first 2 shown]
	v_add_co_u32_e64 v6, s[0:1], v6, v4
	v_addc_co_u32_e64 v7, s[0:1], v7, v5, s[0:1]
	v_cmp_lt_u64_e32 vcc, v[18:19], v[16:17]
	v_cmp_lt_u64_e64 s[0:1], v[10:11], v[8:9]
	s_and_b64 s[0:1], vcc, s[0:1]
	s_and_saveexec_b64 s[2:3], s[0:1]
	s_cbranch_execz .LBB42_30
; %bb.29:
	v_mad_u64_u32 v[4:5], s[0:1], v10, s42, 0
	v_mov_b32_e32 v14, v5
	v_mad_u64_u32 v[14:15], s[0:1], v10, s43, v[14:15]
	v_mov_b32_e32 v5, v14
	v_lshlrev_b64 v[4:5], 4, v[4:5]
	v_add_co_u32_e64 v4, s[0:1], v6, v4
	v_addc_co_u32_e64 v5, s[0:1], v7, v5, s[0:1]
	global_load_dwordx4 v[14:17], v[4:5], off
	s_waitcnt lgkmcnt(0)
	v_mul_f64 v[18:19], s[54:55], v[2:3]
	v_mul_f64 v[2:3], s[52:53], v[2:3]
	v_fma_f64 v[18:19], s[52:53], v[0:1], -v[18:19]
	v_fmac_f64_e32 v[2:3], s[54:55], v[0:1]
	s_waitcnt vmcnt(0)
	v_mul_f64 v[0:1], s[30:31], v[16:17]
	v_mul_f64 v[16:17], s[28:29], v[16:17]
	v_fma_f64 v[0:1], s[28:29], v[14:15], -v[0:1]
	v_fmac_f64_e32 v[16:17], s[30:31], v[14:15]
	v_add_f64 v[0:1], v[18:19], v[0:1]
	v_add_f64 v[2:3], v[2:3], v[16:17]
	global_store_dwordx4 v[4:5], v[0:3], off
.LBB42_30:
	s_or_b64 exec, exec, s[2:3]
	s_waitcnt lgkmcnt(3)
	ds_bpermute_b32 v0, v12, v32
	s_waitcnt lgkmcnt(3)
	ds_bpermute_b32 v1, v12, v33
	;; [unrolled: 2-line block ×4, first 2 shown]
	v_or_b32_e32 v4, 4, v10
	v_mov_b32_e32 v5, v11
	v_cmp_lt_u64_e64 s[0:1], v[4:5], v[8:9]
	s_and_b64 s[0:1], vcc, s[0:1]
	s_and_saveexec_b64 s[2:3], s[0:1]
	s_cbranch_execz .LBB42_32
; %bb.31:
	v_mad_u64_u32 v[14:15], s[0:1], v4, s42, 0
	v_mov_b32_e32 v16, v15
	v_mad_u64_u32 v[4:5], s[0:1], v4, s43, v[16:17]
	v_mov_b32_e32 v15, v4
	v_lshlrev_b64 v[4:5], 4, v[14:15]
	v_add_co_u32_e64 v4, s[0:1], v6, v4
	v_addc_co_u32_e64 v5, s[0:1], v7, v5, s[0:1]
	global_load_dwordx4 v[14:17], v[4:5], off
	s_waitcnt lgkmcnt(0)
	v_mul_f64 v[18:19], s[54:55], v[2:3]
	v_mul_f64 v[2:3], s[52:53], v[2:3]
	v_fma_f64 v[18:19], s[52:53], v[0:1], -v[18:19]
	v_fmac_f64_e32 v[2:3], s[54:55], v[0:1]
	s_waitcnt vmcnt(0)
	v_mul_f64 v[0:1], s[30:31], v[16:17]
	v_mul_f64 v[16:17], s[28:29], v[16:17]
	v_fma_f64 v[0:1], s[28:29], v[14:15], -v[0:1]
	v_fmac_f64_e32 v[16:17], s[30:31], v[14:15]
	v_add_f64 v[0:1], v[18:19], v[0:1]
	v_add_f64 v[2:3], v[2:3], v[16:17]
	global_store_dwordx4 v[4:5], v[0:3], off
.LBB42_32:
	s_or_b64 exec, exec, s[2:3]
	s_waitcnt lgkmcnt(3)
	ds_bpermute_b32 v0, v12, v26
	s_waitcnt lgkmcnt(3)
	ds_bpermute_b32 v1, v12, v27
	;; [unrolled: 2-line block ×4, first 2 shown]
	v_or_b32_e32 v4, 8, v10
	v_mov_b32_e32 v5, v11
	v_cmp_lt_u64_e64 s[0:1], v[4:5], v[8:9]
	s_and_b64 s[0:1], vcc, s[0:1]
	s_and_saveexec_b64 s[2:3], s[0:1]
	s_cbranch_execz .LBB42_34
; %bb.33:
	v_mad_u64_u32 v[14:15], s[0:1], v4, s42, 0
	v_mov_b32_e32 v16, v15
	v_mad_u64_u32 v[4:5], s[0:1], v4, s43, v[16:17]
	v_mov_b32_e32 v15, v4
	v_lshlrev_b64 v[4:5], 4, v[14:15]
	v_add_co_u32_e64 v4, s[0:1], v6, v4
	v_addc_co_u32_e64 v5, s[0:1], v7, v5, s[0:1]
	global_load_dwordx4 v[14:17], v[4:5], off
	s_waitcnt lgkmcnt(0)
	v_mul_f64 v[18:19], s[54:55], v[2:3]
	v_mul_f64 v[2:3], s[52:53], v[2:3]
	v_fma_f64 v[18:19], s[52:53], v[0:1], -v[18:19]
	v_fmac_f64_e32 v[2:3], s[54:55], v[0:1]
	s_waitcnt vmcnt(0)
	v_mul_f64 v[0:1], s[30:31], v[16:17]
	v_mul_f64 v[16:17], s[28:29], v[16:17]
	v_fma_f64 v[0:1], s[28:29], v[14:15], -v[0:1]
	v_fmac_f64_e32 v[16:17], s[30:31], v[14:15]
	v_add_f64 v[0:1], v[18:19], v[0:1]
	v_add_f64 v[2:3], v[2:3], v[16:17]
	global_store_dwordx4 v[4:5], v[0:3], off
.LBB42_34:
	s_or_b64 exec, exec, s[2:3]
	s_waitcnt lgkmcnt(3)
	ds_bpermute_b32 v0, v12, v22
	s_waitcnt lgkmcnt(3)
	ds_bpermute_b32 v1, v12, v23
	;; [unrolled: 2-line block ×4, first 2 shown]
	v_or_b32_e32 v10, 12, v10
	v_cmp_lt_u64_e64 s[0:1], v[10:11], v[8:9]
	s_and_b64 s[0:1], vcc, s[0:1]
	s_and_b64 exec, exec, s[0:1]
	s_cbranch_execz .LBB42_36
; %bb.35:
	v_mad_u64_u32 v[4:5], s[0:1], v10, s42, 0
	v_mov_b32_e32 v8, v5
	v_mad_u64_u32 v[8:9], s[0:1], v10, s43, v[8:9]
	v_mov_b32_e32 v5, v8
	v_lshlrev_b64 v[4:5], 4, v[4:5]
	v_add_co_u32_e32 v8, vcc, v6, v4
	v_addc_co_u32_e32 v9, vcc, v7, v5, vcc
	global_load_dwordx4 v[4:7], v[8:9], off
	s_waitcnt lgkmcnt(0)
	v_mul_f64 v[10:11], s[54:55], v[2:3]
	v_mul_f64 v[2:3], s[52:53], v[2:3]
	v_fma_f64 v[10:11], s[52:53], v[0:1], -v[10:11]
	v_fmac_f64_e32 v[2:3], s[54:55], v[0:1]
	s_waitcnt vmcnt(0)
	v_mul_f64 v[0:1], s[30:31], v[6:7]
	v_mul_f64 v[6:7], s[28:29], v[6:7]
	v_fma_f64 v[0:1], s[28:29], v[4:5], -v[0:1]
	v_fmac_f64_e32 v[6:7], s[30:31], v[4:5]
	v_add_f64 v[0:1], v[10:11], v[0:1]
	v_add_f64 v[2:3], v[2:3], v[6:7]
	global_store_dwordx4 v[8:9], v[0:3], off
.LBB42_36:
	s_endpgm
	.section	.rodata,"a",@progbits
	.p2align	6, 0x0
	.amdhsa_kernel _ZN9rocsolver6v33100L16mfma_gemm_kernelI19rocblas_complex_numIdElPKS3_PS3_PKS6_S8_EEv18rocblas_operation_S9_T0_SA_SA_T1_T2_lSA_SA_lT3_lSA_SA_lSB_T4_lSA_SA_l
		.amdhsa_group_segment_fixed_size 0
		.amdhsa_private_segment_fixed_size 0
		.amdhsa_kernarg_size 424
		.amdhsa_user_sgpr_count 6
		.amdhsa_user_sgpr_private_segment_buffer 1
		.amdhsa_user_sgpr_dispatch_ptr 0
		.amdhsa_user_sgpr_queue_ptr 0
		.amdhsa_user_sgpr_kernarg_segment_ptr 1
		.amdhsa_user_sgpr_dispatch_id 0
		.amdhsa_user_sgpr_flat_scratch_init 0
		.amdhsa_user_sgpr_kernarg_preload_length 0
		.amdhsa_user_sgpr_kernarg_preload_offset 0
		.amdhsa_user_sgpr_private_segment_size 0
		.amdhsa_uses_dynamic_stack 0
		.amdhsa_system_sgpr_private_segment_wavefront_offset 0
		.amdhsa_system_sgpr_workgroup_id_x 1
		.amdhsa_system_sgpr_workgroup_id_y 1
		.amdhsa_system_sgpr_workgroup_id_z 1
		.amdhsa_system_sgpr_workgroup_info 0
		.amdhsa_system_vgpr_workitem_id 1
		.amdhsa_next_free_vgpr 70
		.amdhsa_next_free_sgpr 61
		.amdhsa_accum_offset 72
		.amdhsa_reserve_vcc 1
		.amdhsa_reserve_flat_scratch 0
		.amdhsa_float_round_mode_32 0
		.amdhsa_float_round_mode_16_64 0
		.amdhsa_float_denorm_mode_32 3
		.amdhsa_float_denorm_mode_16_64 3
		.amdhsa_dx10_clamp 1
		.amdhsa_ieee_mode 1
		.amdhsa_fp16_overflow 0
		.amdhsa_tg_split 0
		.amdhsa_exception_fp_ieee_invalid_op 0
		.amdhsa_exception_fp_denorm_src 0
		.amdhsa_exception_fp_ieee_div_zero 0
		.amdhsa_exception_fp_ieee_overflow 0
		.amdhsa_exception_fp_ieee_underflow 0
		.amdhsa_exception_fp_ieee_inexact 0
		.amdhsa_exception_int_div_zero 0
	.end_amdhsa_kernel
	.section	.text._ZN9rocsolver6v33100L16mfma_gemm_kernelI19rocblas_complex_numIdElPKS3_PS3_PKS6_S8_EEv18rocblas_operation_S9_T0_SA_SA_T1_T2_lSA_SA_lT3_lSA_SA_lSB_T4_lSA_SA_l,"axG",@progbits,_ZN9rocsolver6v33100L16mfma_gemm_kernelI19rocblas_complex_numIdElPKS3_PS3_PKS6_S8_EEv18rocblas_operation_S9_T0_SA_SA_T1_T2_lSA_SA_lT3_lSA_SA_lSB_T4_lSA_SA_l,comdat
.Lfunc_end42:
	.size	_ZN9rocsolver6v33100L16mfma_gemm_kernelI19rocblas_complex_numIdElPKS3_PS3_PKS6_S8_EEv18rocblas_operation_S9_T0_SA_SA_T1_T2_lSA_SA_lT3_lSA_SA_lSB_T4_lSA_SA_l, .Lfunc_end42-_ZN9rocsolver6v33100L16mfma_gemm_kernelI19rocblas_complex_numIdElPKS3_PS3_PKS6_S8_EEv18rocblas_operation_S9_T0_SA_SA_T1_T2_lSA_SA_lT3_lSA_SA_lSB_T4_lSA_SA_l
                                        ; -- End function
	.section	.AMDGPU.csdata,"",@progbits
; Kernel info:
; codeLenInByte = 3012
; NumSgprs: 65
; NumVgprs: 70
; NumAgprs: 0
; TotalNumVgprs: 70
; ScratchSize: 0
; MemoryBound: 1
; FloatMode: 240
; IeeeMode: 1
; LDSByteSize: 0 bytes/workgroup (compile time only)
; SGPRBlocks: 8
; VGPRBlocks: 8
; NumSGPRsForWavesPerEU: 65
; NumVGPRsForWavesPerEU: 70
; AccumOffset: 72
; Occupancy: 7
; WaveLimiterHint : 1
; COMPUTE_PGM_RSRC2:SCRATCH_EN: 0
; COMPUTE_PGM_RSRC2:USER_SGPR: 6
; COMPUTE_PGM_RSRC2:TRAP_HANDLER: 0
; COMPUTE_PGM_RSRC2:TGID_X_EN: 1
; COMPUTE_PGM_RSRC2:TGID_Y_EN: 1
; COMPUTE_PGM_RSRC2:TGID_Z_EN: 1
; COMPUTE_PGM_RSRC2:TIDIG_COMP_CNT: 1
; COMPUTE_PGM_RSRC3_GFX90A:ACCUM_OFFSET: 17
; COMPUTE_PGM_RSRC3_GFX90A:TG_SPLIT: 0
	.section	.text._ZN9rocsolver6v33100L16mfma_gemm_kernelI19rocblas_complex_numIdElS3_PS3_PKS4_S6_EEv18rocblas_operation_S7_T0_S8_S8_T1_T2_lS8_S8_lT3_lS8_S8_lS9_T4_lS8_S8_l,"axG",@progbits,_ZN9rocsolver6v33100L16mfma_gemm_kernelI19rocblas_complex_numIdElS3_PS3_PKS4_S6_EEv18rocblas_operation_S7_T0_S8_S8_T1_T2_lS8_S8_lT3_lS8_S8_lS9_T4_lS8_S8_l,comdat
	.globl	_ZN9rocsolver6v33100L16mfma_gemm_kernelI19rocblas_complex_numIdElS3_PS3_PKS4_S6_EEv18rocblas_operation_S7_T0_S8_S8_T1_T2_lS8_S8_lT3_lS8_S8_lS9_T4_lS8_S8_l ; -- Begin function _ZN9rocsolver6v33100L16mfma_gemm_kernelI19rocblas_complex_numIdElS3_PS3_PKS4_S6_EEv18rocblas_operation_S7_T0_S8_S8_T1_T2_lS8_S8_lT3_lS8_S8_lS9_T4_lS8_S8_l
	.p2align	8
	.type	_ZN9rocsolver6v33100L16mfma_gemm_kernelI19rocblas_complex_numIdElS3_PS3_PKS4_S6_EEv18rocblas_operation_S7_T0_S8_S8_T1_T2_lS8_S8_lT3_lS8_S8_lS9_T4_lS8_S8_l,@function
_ZN9rocsolver6v33100L16mfma_gemm_kernelI19rocblas_complex_numIdElS3_PS3_PKS4_S6_EEv18rocblas_operation_S7_T0_S8_S8_T1_T2_lS8_S8_lT3_lS8_S8_lS9_T4_lS8_S8_l: ; @_ZN9rocsolver6v33100L16mfma_gemm_kernelI19rocblas_complex_numIdElS3_PS3_PKS4_S6_EEv18rocblas_operation_S7_T0_S8_S8_T1_T2_lS8_S8_lT3_lS8_S8_lS9_T4_lS8_S8_l
; %bb.0:
	s_load_dword s0, s[4:5], 0xc4
	s_load_dwordx16 s[12:27], s[4:5], 0x8
	v_and_b32_e32 v4, 0x3ff, v0
	v_mov_b32_e32 v9, 0
	v_lshrrev_b32_e32 v8, 6, v4
	s_waitcnt lgkmcnt(0)
	s_lshr_b32 s2, s0, 16
	s_bfe_u32 s0, s0, 0xa0006
	v_bfe_u32 v0, v0, 10, 10
	v_mov_b32_e32 v1, v9
	v_mov_b32_e32 v2, s6
	;; [unrolled: 1-line block ×3, first 2 shown]
	v_mad_u64_u32 v[2:3], s[0:1], s0, v2, v[8:9]
	v_mad_u64_u32 v[0:1], s[0:1], s2, v5, v[0:1]
	v_lshlrev_b64 v[12:13], 4, v[2:3]
	v_lshlrev_b64 v[16:17], 4, v[0:1]
	v_cmp_gt_i64_e32 vcc, s[12:13], v[12:13]
	v_cmp_gt_i64_e64 s[0:1], s[14:15], v[16:17]
	s_and_b64 s[0:1], vcc, s[0:1]
	s_and_saveexec_b64 s[2:3], s[0:1]
	s_cbranch_execz .LBB43_36
; %bb.1:
	s_load_dwordx8 s[36:43], s[4:5], 0x80
	s_load_dwordx4 s[28:31], s[4:5], 0xa0
	v_add_co_u32_e32 v6, vcc, 16, v12
	v_addc_co_u32_e32 v7, vcc, 0, v13, vcc
	s_and_b32 s0, s12, 15
	s_mov_b32 s9, 0
	v_mov_b32_e32 v5, s0
	v_cmp_lt_u64_e32 vcc, s[12:13], v[6:7]
	s_and_b32 s0, s14, 15
	s_lshl_b64 s[2:3], s[8:9], 3
	v_cndmask_b32_e32 v8, 16, v5, vcc
	v_add_co_u32_e32 v6, vcc, 16, v16
	v_mov_b32_e32 v5, s0
	s_waitcnt lgkmcnt(0)
	s_add_u32 s0, s40, s2
	v_addc_co_u32_e32 v7, vcc, 0, v17, vcc
	s_addc_u32 s1, s41, s3
	v_cmp_lt_u64_e32 vcc, s[14:15], v[6:7]
	s_load_dwordx2 s[14:15], s[0:1], 0x0
	v_cndmask_b32_e32 v14, 16, v5, vcc
	v_mov_b32_e32 v15, v9
	v_bfe_u32 v18, v4, 2, 4
	v_mov_b32_e32 v19, v9
	v_cmp_lt_i64_e64 s[0:1], s[16:17], 1
	v_pk_mov_b32 v[36:37], 0, 0
	v_and_b32_e32 v46, 63, v4
	v_and_b32_e32 v10, 3, v4
	v_mov_b32_e32 v11, v9
	s_mov_b64 s[34:35], 0
	s_and_b64 vcc, exec, s[0:1]
	v_cmp_lt_u64_e64 s[0:1], v[18:19], v[14:15]
	v_mbcnt_lo_u32_b32 v29, -1, 0
	v_pk_mov_b32 v[38:39], v[36:37], v[36:37] op_sel:[0,1]
	v_pk_mov_b32 v[20:21], v[36:37], v[36:37] op_sel:[0,1]
	;; [unrolled: 1-line block ×7, first 2 shown]
	s_cbranch_vccnz .LBB43_28
; %bb.2:
	s_load_dwordx2 s[10:11], s[4:5], 0x0
	s_load_dwordx8 s[44:51], s[4:5], 0x48
	s_load_dwordx4 s[52:55], s[4:5], 0x68
	v_mov_b32_e32 v5, 0
	v_and_b32_e32 v4, 15, v46
	s_waitcnt lgkmcnt(0)
	s_cmpk_lg_i32 s10, 0x6f
	s_cselect_b64 s[40:41], -1, 0
	s_cmpk_lg_i32 s11, 0x6f
	s_cselect_b64 s[56:57], -1, 0
	s_add_u32 s2, s48, s2
	s_addc_u32 s3, s49, s3
	s_cmpk_eq_i32 s11, 0x6f
	s_cselect_b32 s33, s54, s52
	s_cselect_b32 s60, s55, s53
	s_cmpk_eq_i32 s10, 0x6f
	s_cselect_b32 s9, s26, s44
	s_cselect_b32 s58, s27, s45
	v_lshrrev_b32_e32 v28, 4, v46
	v_cmp_lt_u64_e64 s[4:5], v[4:5], v[8:9]
	v_cmp_lt_u64_e64 s[6:7], v[4:5], v[14:15]
	v_mul_lo_u32 v5, s58, v2
	v_mul_lo_u32 v6, s9, v3
	v_mad_u64_u32 v[2:3], s[58:59], s9, v2, 0
	v_add3_u32 v3, v3, v6, v5
	v_mad_u64_u32 v[6:7], s[58:59], s44, v28, 0
	v_mov_b32_e32 v20, v7
	v_mad_u64_u32 v[20:21], s[58:59], s45, v28, v[20:21]
	s_cmpk_eq_i32 s10, 0x71
	v_mov_b32_e32 v7, v20
	s_cselect_b64 s[12:13], -1, 0
	s_cmpk_eq_i32 s11, 0x71
	v_lshlrev_b64 v[2:3], 8, v[2:3]
	v_lshlrev_b64 v[6:7], 4, v[6:7]
	s_mul_i32 s9, s47, s8
	s_mul_hi_u32 s47, s46, s8
	s_cselect_b64 s[10:11], -1, 0
	v_add_co_u32_e32 v5, vcc, v2, v6
	s_add_i32 s9, s47, s9
	s_mul_i32 s8, s46, s8
	v_addc_co_u32_e32 v6, vcc, v3, v7, vcc
	s_lshl_b64 s[8:9], s[8:9], 4
	v_mov_b32_e32 v23, s9
	v_add_co_u32_e32 v5, vcc, s8, v5
	v_addc_co_u32_e32 v24, vcc, v6, v23, vcc
	v_mad_u64_u32 v[6:7], s[46:47], s26, v4, 0
	v_mov_b32_e32 v20, v7
	v_mad_u64_u32 v[20:21], s[46:47], s27, v4, v[20:21]
	v_mov_b32_e32 v7, v20
	v_lshlrev_b64 v[6:7], 4, v[6:7]
	s_lshl_b64 s[24:25], s[24:25], 4
	v_add_co_u32_e32 v5, vcc, v5, v6
	s_add_u32 s58, s22, s24
	v_addc_co_u32_e32 v6, vcc, v24, v7, vcc
	s_addc_u32 s59, s23, s25
	v_mov_b32_e32 v7, s59
	v_add_co_u32_e32 v5, vcc, s58, v5
	v_addc_co_u32_e32 v6, vcc, v7, v6, vcc
	v_add_co_u32_e32 v34, vcc, 8, v5
	v_addc_co_u32_e32 v35, vcc, 0, v6, vcc
	v_mul_lo_u32 v5, s60, v0
	v_mul_lo_u32 v6, s33, v1
	v_mad_u64_u32 v[0:1], s[24:25], s33, v0, 0
	v_add3_u32 v1, v1, v6, v5
	v_mad_u64_u32 v[6:7], s[24:25], s54, v28, 0
	v_mov_b32_e32 v20, v7
	v_mad_u64_u32 v[20:21], s[24:25], s55, v28, v[20:21]
	v_mov_b32_e32 v7, v20
	v_lshlrev_b64 v[0:1], 8, v[0:1]
	v_lshlrev_b64 v[6:7], 4, v[6:7]
	v_add_co_u32_e32 v21, vcc, v0, v6
	s_load_dwordx2 s[48:49], s[2:3], 0x0
	v_addc_co_u32_e32 v24, vcc, v1, v7, vcc
	v_mad_u64_u32 v[6:7], s[24:25], s52, v4, 0
	v_mov_b32_e32 v20, v7
	v_lshl_or_b32 v22, v4, 2, v28
	v_mad_u64_u32 v[4:5], s[24:25], s53, v4, v[20:21]
	v_mov_b32_e32 v7, v4
	s_lshl_b64 s[22:23], s[44:45], 6
	v_lshlrev_b64 v[4:5], 4, v[6:7]
	s_lshl_b64 s[24:25], s[50:51], 4
	v_add_co_u32_e32 v4, vcc, v21, v4
	s_waitcnt lgkmcnt(0)
	s_add_u32 s33, s48, s24
	v_addc_co_u32_e32 v5, vcc, v24, v5, vcc
	s_addc_u32 s48, s49, s25
	v_mov_b32_e32 v6, s48
	v_add_co_u32_e32 v4, vcc, s33, v4
	v_addc_co_u32_e32 v5, vcc, v6, v5, vcc
	v_add_co_u32_e32 v40, vcc, 8, v4
	v_addc_co_u32_e32 v41, vcc, 0, v5, vcc
	v_mad_u64_u32 v[4:5], s[46:47], s44, v18, 0
	v_mov_b32_e32 v6, v5
	v_mad_u64_u32 v[6:7], s[44:45], s45, v18, v[6:7]
	v_mov_b32_e32 v5, v6
	v_lshlrev_b64 v[4:5], 4, v[4:5]
	v_add_co_u32_e32 v2, vcc, v2, v4
	v_addc_co_u32_e32 v3, vcc, v3, v5, vcc
	v_add_co_u32_e32 v6, vcc, s8, v2
	v_addc_co_u32_e32 v7, vcc, v3, v23, vcc
	v_mad_u64_u32 v[2:3], s[8:9], s26, v10, 0
	v_mov_b32_e32 v4, v3
	v_mad_u64_u32 v[4:5], s[8:9], s27, v10, v[4:5]
	v_mov_b32_e32 v3, v4
	v_lshlrev_b64 v[2:3], 4, v[2:3]
	v_add_co_u32_e32 v2, vcc, v6, v2
	v_addc_co_u32_e32 v3, vcc, v7, v3, vcc
	v_mov_b32_e32 v4, s59
	v_add_co_u32_e32 v2, vcc, s58, v2
	v_addc_co_u32_e32 v3, vcc, v4, v3, vcc
	v_add_co_u32_e32 v42, vcc, 8, v2
	v_addc_co_u32_e32 v43, vcc, 0, v3, vcc
	v_mad_u64_u32 v[2:3], s[8:9], s54, v18, 0
	v_mov_b32_e32 v4, v3
	v_mad_u64_u32 v[4:5], s[8:9], s55, v18, v[4:5]
	v_mov_b32_e32 v3, v4
	v_lshlrev_b64 v[2:3], 4, v[2:3]
	v_add_co_u32_e32 v4, vcc, v0, v2
	v_addc_co_u32_e32 v5, vcc, v1, v3, vcc
	v_mad_u64_u32 v[0:1], s[8:9], s52, v10, 0
	v_mov_b32_e32 v2, v1
	v_mad_u64_u32 v[2:3], s[8:9], s53, v10, v[2:3]
	v_mov_b32_e32 v1, v2
	v_lshlrev_b64 v[0:1], 4, v[0:1]
	v_add_co_u32_e32 v0, vcc, v4, v0
	v_addc_co_u32_e32 v1, vcc, v5, v1, vcc
	v_mov_b32_e32 v2, s48
	v_add_co_u32_e32 v0, vcc, s33, v0
	v_addc_co_u32_e32 v1, vcc, v2, v1, vcc
	v_add_co_u32_e32 v44, vcc, 8, v0
	v_mbcnt_hi_u32_b32 v0, -1, v29
	v_pk_mov_b32 v[20:21], 0, 0
	v_and_or_b32 v0, v0, 64, v22
	v_cmp_lt_u64_e64 s[2:3], v[18:19], v[8:9]
	s_lshl_b64 s[24:25], s[54:55], 6
	s_lshl_b64 s[26:27], s[26:27], 6
	v_addc_co_u32_e32 v45, vcc, 0, v1, vcc
	s_lshl_b64 s[44:45], s[52:53], 6
	v_lshlrev_b32_e32 v47, 2, v0
	v_pk_mov_b32 v[24:25], v[20:21], v[20:21] op_sel:[0,1]
	v_pk_mov_b32 v[30:31], v[20:21], v[20:21] op_sel:[0,1]
	;; [unrolled: 1-line block ×7, first 2 shown]
	s_branch .LBB43_6
.LBB43_3:                               ;   in Loop: Header=BB43_6 Depth=1
	s_or_b64 exec, exec, s[46:47]
.LBB43_4:                               ;   in Loop: Header=BB43_6 Depth=1
	s_or_b64 exec, exec, s[8:9]
	s_waitcnt vmcnt(0)
	ds_bpermute_b32 v4, v47, v4
	ds_bpermute_b32 v5, v47, v5
	ds_bpermute_b32 v6, v47, v6
	ds_bpermute_b32 v7, v47, v7
.LBB43_5:                               ;   in Loop: Header=BB43_6 Depth=1
	s_waitcnt vmcnt(0) lgkmcnt(0)
	v_xor_b32_e32 v48, 0x80000000, v3
	v_cndmask_b32_e64 v3, v3, v48, s[12:13]
	v_cndmask_b32_e64 v2, v2, v2, s[12:13]
	v_xor_b32_e32 v48, 0x80000000, v7
	v_cndmask_b32_e64 v7, v7, v48, s[10:11]
	v_cndmask_b32_e64 v6, v6, v6, s[10:11]
	v_mfma_f64_16x16x4f64 v[48:55], v[0:1], v[4:5], 0
	s_add_u32 s34, s34, 4
	s_addc_u32 s35, s35, 0
	v_add_co_u32_e64 v34, s[8:9], s22, v34
	v_mfma_f64_16x16x4f64 v[56:63], v[2:3], v[6:7], 0
	s_nop 7
	s_nop 2
	v_add_f64 v[54:55], v[54:55], -v[62:63]
	v_pk_mov_b32 v[62:63], s[16:17], s[16:17] op_sel:[0,1]
	v_cmp_ge_i64_e32 vcc, s[34:35], v[62:63]
	v_mfma_f64_16x16x4f64 v[62:69], v[0:1], v[6:7], 0
	s_and_b64 vcc, exec, vcc
	v_add_f64 v[52:53], v[52:53], -v[60:61]
	v_add_f64 v[50:51], v[50:51], -v[58:59]
	;; [unrolled: 1-line block ×3, first 2 shown]
	v_add_f64 v[36:37], v[36:37], v[48:49]
	v_add_f64 v[32:33], v[32:33], v[50:51]
	;; [unrolled: 1-line block ×4, first 2 shown]
	v_mfma_f64_16x16x4f64 v[0:7], v[2:3], v[4:5], 0
	s_nop 7
	s_nop 2
	v_add_f64 v[0:1], v[62:63], v[0:1]
	v_add_f64 v[38:39], v[38:39], v[0:1]
	v_mov_b32_e32 v0, s23
	v_addc_co_u32_e64 v35, s[8:9], v35, v0, s[8:9]
	v_mov_b32_e32 v0, s25
	v_add_co_u32_e64 v40, s[8:9], s24, v40
	v_addc_co_u32_e64 v41, s[8:9], v41, v0, s[8:9]
	v_mov_b32_e32 v0, s27
	v_add_co_u32_e64 v42, s[8:9], s26, v42
	v_addc_co_u32_e64 v43, s[8:9], v43, v0, s[8:9]
	v_add_f64 v[6:7], v[68:69], v[6:7]
	v_add_f64 v[4:5], v[66:67], v[4:5]
	;; [unrolled: 1-line block ×3, first 2 shown]
	v_mov_b32_e32 v0, s45
	v_add_co_u32_e64 v44, s[8:9], s44, v44
	v_add_f64 v[30:31], v[30:31], v[2:3]
	v_add_f64 v[24:25], v[24:25], v[4:5]
	;; [unrolled: 1-line block ×3, first 2 shown]
	v_addc_co_u32_e64 v45, s[8:9], v45, v0, s[8:9]
	s_cbranch_vccnz .LBB43_28
.LBB43_6:                               ; =>This Inner Loop Header: Depth=1
	s_and_b64 vcc, exec, s[40:41]
	s_cbranch_vccz .LBB43_18
; %bb.7:                                ;   in Loop: Header=BB43_6 Depth=1
	v_pk_mov_b32 v[0:1], 0, 0
	s_mov_b64 s[8:9], 0
	v_pk_mov_b32 v[2:3], v[0:1], v[0:1] op_sel:[0,1]
	s_and_saveexec_b64 s[46:47], s[2:3]
	s_cbranch_execz .LBB43_11
; %bb.8:                                ;   in Loop: Header=BB43_6 Depth=1
	v_mov_b32_e32 v1, s35
	v_add_co_u32_e32 v0, vcc, s34, v10
	v_addc_co_u32_e32 v1, vcc, 0, v1, vcc
	v_pk_mov_b32 v[2:3], 0, 0
	v_cmp_gt_i64_e32 vcc, s[16:17], v[0:1]
	v_pk_mov_b32 v[0:1], v[2:3], v[2:3] op_sel:[0,1]
	s_and_saveexec_b64 s[48:49], vcc
	s_cbranch_execz .LBB43_10
; %bb.9:                                ;   in Loop: Header=BB43_6 Depth=1
	global_load_dwordx4 v[0:3], v[42:43], off offset:-8
.LBB43_10:                              ;   in Loop: Header=BB43_6 Depth=1
	s_or_b64 exec, exec, s[48:49]
.LBB43_11:                              ;   in Loop: Header=BB43_6 Depth=1
	s_or_b64 exec, exec, s[46:47]
	s_waitcnt vmcnt(0)
	ds_bpermute_b32 v0, v47, v0
	ds_bpermute_b32 v1, v47, v1
	;; [unrolled: 1-line block ×4, first 2 shown]
	s_and_b64 vcc, exec, s[8:9]
	s_cbranch_vccnz .LBB43_19
.LBB43_12:                              ;   in Loop: Header=BB43_6 Depth=1
	s_and_b64 vcc, exec, s[56:57]
	s_cbranch_vccz .LBB43_24
.LBB43_13:                              ;   in Loop: Header=BB43_6 Depth=1
	v_pk_mov_b32 v[6:7], 0, 0
	s_mov_b64 s[8:9], 0
	v_pk_mov_b32 v[4:5], v[6:7], v[6:7] op_sel:[0,1]
	s_and_saveexec_b64 s[46:47], s[6:7]
	s_cbranch_execz .LBB43_17
; %bb.14:                               ;   in Loop: Header=BB43_6 Depth=1
	v_mov_b32_e32 v5, s35
	v_add_co_u32_e32 v4, vcc, s34, v28
	v_addc_co_u32_e32 v5, vcc, 0, v5, vcc
	v_pk_mov_b32 v[6:7], 0, 0
	v_cmp_gt_i64_e32 vcc, s[16:17], v[4:5]
	v_pk_mov_b32 v[4:5], v[6:7], v[6:7] op_sel:[0,1]
	s_and_saveexec_b64 s[48:49], vcc
	s_cbranch_execz .LBB43_16
; %bb.15:                               ;   in Loop: Header=BB43_6 Depth=1
	global_load_dwordx4 v[4:7], v[40:41], off offset:-8
.LBB43_16:                              ;   in Loop: Header=BB43_6 Depth=1
	s_or_b64 exec, exec, s[48:49]
.LBB43_17:                              ;   in Loop: Header=BB43_6 Depth=1
	s_or_b64 exec, exec, s[46:47]
	s_andn2_b64 vcc, exec, s[8:9]
	s_cbranch_vccnz .LBB43_5
	s_branch .LBB43_25
.LBB43_18:                              ;   in Loop: Header=BB43_6 Depth=1
                                        ; implicit-def: $vgpr2_vgpr3
	s_cbranch_execz .LBB43_12
.LBB43_19:                              ;   in Loop: Header=BB43_6 Depth=1
	s_waitcnt lgkmcnt(0)
	v_pk_mov_b32 v[2:3], 0, 0
	v_pk_mov_b32 v[0:1], v[2:3], v[2:3] op_sel:[0,1]
	s_and_saveexec_b64 s[8:9], s[4:5]
	s_cbranch_execz .LBB43_23
; %bb.20:                               ;   in Loop: Header=BB43_6 Depth=1
	v_mov_b32_e32 v1, s35
	v_add_co_u32_e32 v0, vcc, s34, v28
	v_addc_co_u32_e32 v1, vcc, 0, v1, vcc
	v_pk_mov_b32 v[2:3], 0, 0
	v_cmp_gt_i64_e32 vcc, s[16:17], v[0:1]
	v_pk_mov_b32 v[0:1], v[2:3], v[2:3] op_sel:[0,1]
	s_and_saveexec_b64 s[46:47], vcc
	s_cbranch_execz .LBB43_22
; %bb.21:                               ;   in Loop: Header=BB43_6 Depth=1
	global_load_dwordx4 v[0:3], v[34:35], off offset:-8
.LBB43_22:                              ;   in Loop: Header=BB43_6 Depth=1
	s_or_b64 exec, exec, s[46:47]
.LBB43_23:                              ;   in Loop: Header=BB43_6 Depth=1
	s_or_b64 exec, exec, s[8:9]
	s_and_b64 vcc, exec, s[56:57]
	s_cbranch_vccnz .LBB43_13
.LBB43_24:                              ;   in Loop: Header=BB43_6 Depth=1
                                        ; implicit-def: $vgpr6_vgpr7
.LBB43_25:                              ;   in Loop: Header=BB43_6 Depth=1
	s_waitcnt vmcnt(0)
	v_pk_mov_b32 v[4:5], 0, 0
	v_pk_mov_b32 v[6:7], v[4:5], v[4:5] op_sel:[0,1]
	s_and_saveexec_b64 s[8:9], s[0:1]
	s_cbranch_execz .LBB43_4
; %bb.26:                               ;   in Loop: Header=BB43_6 Depth=1
	v_mov_b32_e32 v5, s35
	v_add_co_u32_e32 v4, vcc, s34, v10
	v_addc_co_u32_e32 v5, vcc, 0, v5, vcc
	v_pk_mov_b32 v[6:7], 0, 0
	v_cmp_gt_i64_e32 vcc, s[16:17], v[4:5]
	v_pk_mov_b32 v[4:5], v[6:7], v[6:7] op_sel:[0,1]
	s_and_saveexec_b64 s[46:47], vcc
	s_cbranch_execz .LBB43_3
; %bb.27:                               ;   in Loop: Header=BB43_6 Depth=1
	global_load_dwordx4 v[4:7], v[44:45], off offset:-8
	s_branch .LBB43_3
.LBB43_28:
	s_lshl_b64 s[0:1], s[42:43], 4
	s_waitcnt lgkmcnt(0)
	s_add_u32 s2, s14, s0
	s_addc_u32 s3, s15, s1
	v_mul_lo_u32 v2, v17, s30
	v_mul_lo_u32 v3, v16, s31
	v_mad_u64_u32 v[0:1], s[0:1], v16, s30, 0
	v_add3_u32 v1, v1, v3, v2
	v_mul_lo_u32 v4, v13, s28
	v_mul_lo_u32 v5, v12, s29
	v_mad_u64_u32 v[2:3], s[0:1], v12, s28, 0
	v_lshlrev_b64 v[0:1], 4, v[0:1]
	v_add3_u32 v3, v3, v5, v4
	v_mov_b32_e32 v4, s3
	v_add_co_u32_e32 v5, vcc, s2, v0
	v_addc_co_u32_e32 v4, vcc, v4, v1, vcc
	v_lshlrev_b64 v[0:1], 4, v[2:3]
	v_add_co_u32_e32 v6, vcc, v5, v0
	v_lshl_or_b32 v0, v46, 4, v18
	v_addc_co_u32_e32 v7, vcc, v4, v1, vcc
	v_mbcnt_hi_u32_b32 v1, -1, v29
	v_and_b32_e32 v0, 63, v0
	v_and_or_b32 v0, v1, 64, v0
	v_lshlrev_b32_e32 v12, 2, v0
	v_mad_u64_u32 v[0:1], s[0:1], v18, s30, 0
	v_mov_b32_e32 v2, v1
	v_mad_u64_u32 v[2:3], s[0:1], v18, s31, v[2:3]
	v_mov_b32_e32 v1, v2
	v_lshlrev_b64 v[4:5], 4, v[0:1]
	ds_bpermute_b32 v0, v12, v36
	ds_bpermute_b32 v1, v12, v37
	;; [unrolled: 1-line block ×4, first 2 shown]
	v_add_co_u32_e64 v6, s[0:1], v6, v4
	v_addc_co_u32_e64 v7, s[0:1], v7, v5, s[0:1]
	v_cmp_lt_u64_e32 vcc, v[18:19], v[14:15]
	v_cmp_lt_u64_e64 s[0:1], v[10:11], v[8:9]
	s_and_b64 s[0:1], vcc, s[0:1]
	s_and_saveexec_b64 s[2:3], s[0:1]
	s_cbranch_execz .LBB43_30
; %bb.29:
	v_mad_u64_u32 v[4:5], s[0:1], v10, s28, 0
	v_mov_b32_e32 v14, v5
	v_mad_u64_u32 v[14:15], s[0:1], v10, s29, v[14:15]
	v_mov_b32_e32 v5, v14
	v_lshlrev_b64 v[4:5], 4, v[4:5]
	v_add_co_u32_e64 v4, s[0:1], v6, v4
	v_addc_co_u32_e64 v5, s[0:1], v7, v5, s[0:1]
	global_load_dwordx4 v[14:17], v[4:5], off
	s_waitcnt lgkmcnt(0)
	v_mul_f64 v[18:19], s[20:21], v[2:3]
	v_mul_f64 v[2:3], s[18:19], v[2:3]
	v_fma_f64 v[18:19], s[18:19], v[0:1], -v[18:19]
	v_fmac_f64_e32 v[2:3], s[20:21], v[0:1]
	s_waitcnt vmcnt(0)
	v_mul_f64 v[0:1], s[38:39], v[16:17]
	v_mul_f64 v[16:17], s[36:37], v[16:17]
	v_fma_f64 v[0:1], s[36:37], v[14:15], -v[0:1]
	v_fmac_f64_e32 v[16:17], s[38:39], v[14:15]
	v_add_f64 v[0:1], v[18:19], v[0:1]
	v_add_f64 v[2:3], v[2:3], v[16:17]
	global_store_dwordx4 v[4:5], v[0:3], off
.LBB43_30:
	s_or_b64 exec, exec, s[2:3]
	s_waitcnt lgkmcnt(3)
	ds_bpermute_b32 v0, v12, v32
	s_waitcnt lgkmcnt(3)
	ds_bpermute_b32 v1, v12, v33
	;; [unrolled: 2-line block ×4, first 2 shown]
	v_or_b32_e32 v4, 4, v10
	v_mov_b32_e32 v5, v11
	v_cmp_lt_u64_e64 s[0:1], v[4:5], v[8:9]
	s_and_b64 s[0:1], vcc, s[0:1]
	s_and_saveexec_b64 s[2:3], s[0:1]
	s_cbranch_execz .LBB43_32
; %bb.31:
	v_mad_u64_u32 v[14:15], s[0:1], v4, s28, 0
	v_mov_b32_e32 v16, v15
	v_mad_u64_u32 v[4:5], s[0:1], v4, s29, v[16:17]
	v_mov_b32_e32 v15, v4
	v_lshlrev_b64 v[4:5], 4, v[14:15]
	v_add_co_u32_e64 v4, s[0:1], v6, v4
	v_addc_co_u32_e64 v5, s[0:1], v7, v5, s[0:1]
	global_load_dwordx4 v[14:17], v[4:5], off
	s_waitcnt lgkmcnt(0)
	v_mul_f64 v[18:19], s[20:21], v[2:3]
	v_mul_f64 v[2:3], s[18:19], v[2:3]
	v_fma_f64 v[18:19], s[18:19], v[0:1], -v[18:19]
	v_fmac_f64_e32 v[2:3], s[20:21], v[0:1]
	s_waitcnt vmcnt(0)
	v_mul_f64 v[0:1], s[38:39], v[16:17]
	v_mul_f64 v[16:17], s[36:37], v[16:17]
	v_fma_f64 v[0:1], s[36:37], v[14:15], -v[0:1]
	v_fmac_f64_e32 v[16:17], s[38:39], v[14:15]
	v_add_f64 v[0:1], v[18:19], v[0:1]
	v_add_f64 v[2:3], v[2:3], v[16:17]
	global_store_dwordx4 v[4:5], v[0:3], off
.LBB43_32:
	s_or_b64 exec, exec, s[2:3]
	s_waitcnt lgkmcnt(3)
	ds_bpermute_b32 v0, v12, v26
	s_waitcnt lgkmcnt(3)
	ds_bpermute_b32 v1, v12, v27
	;; [unrolled: 2-line block ×4, first 2 shown]
	v_or_b32_e32 v4, 8, v10
	v_mov_b32_e32 v5, v11
	v_cmp_lt_u64_e64 s[0:1], v[4:5], v[8:9]
	s_and_b64 s[0:1], vcc, s[0:1]
	s_and_saveexec_b64 s[2:3], s[0:1]
	s_cbranch_execz .LBB43_34
; %bb.33:
	v_mad_u64_u32 v[14:15], s[0:1], v4, s28, 0
	v_mov_b32_e32 v16, v15
	v_mad_u64_u32 v[4:5], s[0:1], v4, s29, v[16:17]
	v_mov_b32_e32 v15, v4
	v_lshlrev_b64 v[4:5], 4, v[14:15]
	v_add_co_u32_e64 v4, s[0:1], v6, v4
	v_addc_co_u32_e64 v5, s[0:1], v7, v5, s[0:1]
	global_load_dwordx4 v[14:17], v[4:5], off
	s_waitcnt lgkmcnt(0)
	v_mul_f64 v[18:19], s[20:21], v[2:3]
	v_mul_f64 v[2:3], s[18:19], v[2:3]
	v_fma_f64 v[18:19], s[18:19], v[0:1], -v[18:19]
	v_fmac_f64_e32 v[2:3], s[20:21], v[0:1]
	s_waitcnt vmcnt(0)
	v_mul_f64 v[0:1], s[38:39], v[16:17]
	v_mul_f64 v[16:17], s[36:37], v[16:17]
	v_fma_f64 v[0:1], s[36:37], v[14:15], -v[0:1]
	v_fmac_f64_e32 v[16:17], s[38:39], v[14:15]
	v_add_f64 v[0:1], v[18:19], v[0:1]
	v_add_f64 v[2:3], v[2:3], v[16:17]
	global_store_dwordx4 v[4:5], v[0:3], off
.LBB43_34:
	s_or_b64 exec, exec, s[2:3]
	s_waitcnt lgkmcnt(3)
	ds_bpermute_b32 v0, v12, v22
	s_waitcnt lgkmcnt(3)
	ds_bpermute_b32 v1, v12, v23
	;; [unrolled: 2-line block ×4, first 2 shown]
	v_or_b32_e32 v10, 12, v10
	v_cmp_lt_u64_e64 s[0:1], v[10:11], v[8:9]
	s_and_b64 s[0:1], vcc, s[0:1]
	s_and_b64 exec, exec, s[0:1]
	s_cbranch_execz .LBB43_36
; %bb.35:
	v_mad_u64_u32 v[4:5], s[0:1], v10, s28, 0
	v_mov_b32_e32 v8, v5
	v_mad_u64_u32 v[8:9], s[0:1], v10, s29, v[8:9]
	v_mov_b32_e32 v5, v8
	v_lshlrev_b64 v[4:5], 4, v[4:5]
	v_add_co_u32_e32 v8, vcc, v6, v4
	v_addc_co_u32_e32 v9, vcc, v7, v5, vcc
	global_load_dwordx4 v[4:7], v[8:9], off
	s_waitcnt lgkmcnt(0)
	v_mul_f64 v[10:11], s[20:21], v[2:3]
	v_mul_f64 v[2:3], s[18:19], v[2:3]
	v_fma_f64 v[10:11], s[18:19], v[0:1], -v[10:11]
	v_fmac_f64_e32 v[2:3], s[20:21], v[0:1]
	s_waitcnt vmcnt(0)
	v_mul_f64 v[0:1], s[38:39], v[6:7]
	v_mul_f64 v[6:7], s[36:37], v[6:7]
	v_fma_f64 v[0:1], s[36:37], v[4:5], -v[0:1]
	v_fmac_f64_e32 v[6:7], s[38:39], v[4:5]
	v_add_f64 v[0:1], v[10:11], v[0:1]
	v_add_f64 v[2:3], v[2:3], v[6:7]
	global_store_dwordx4 v[8:9], v[0:3], off
.LBB43_36:
	s_endpgm
	.section	.rodata,"a",@progbits
	.p2align	6, 0x0
	.amdhsa_kernel _ZN9rocsolver6v33100L16mfma_gemm_kernelI19rocblas_complex_numIdElS3_PS3_PKS4_S6_EEv18rocblas_operation_S7_T0_S8_S8_T1_T2_lS8_S8_lT3_lS8_S8_lS9_T4_lS8_S8_l
		.amdhsa_group_segment_fixed_size 0
		.amdhsa_private_segment_fixed_size 0
		.amdhsa_kernarg_size 440
		.amdhsa_user_sgpr_count 6
		.amdhsa_user_sgpr_private_segment_buffer 1
		.amdhsa_user_sgpr_dispatch_ptr 0
		.amdhsa_user_sgpr_queue_ptr 0
		.amdhsa_user_sgpr_kernarg_segment_ptr 1
		.amdhsa_user_sgpr_dispatch_id 0
		.amdhsa_user_sgpr_flat_scratch_init 0
		.amdhsa_user_sgpr_kernarg_preload_length 0
		.amdhsa_user_sgpr_kernarg_preload_offset 0
		.amdhsa_user_sgpr_private_segment_size 0
		.amdhsa_uses_dynamic_stack 0
		.amdhsa_system_sgpr_private_segment_wavefront_offset 0
		.amdhsa_system_sgpr_workgroup_id_x 1
		.amdhsa_system_sgpr_workgroup_id_y 1
		.amdhsa_system_sgpr_workgroup_id_z 1
		.amdhsa_system_sgpr_workgroup_info 0
		.amdhsa_system_vgpr_workitem_id 1
		.amdhsa_next_free_vgpr 70
		.amdhsa_next_free_sgpr 61
		.amdhsa_accum_offset 72
		.amdhsa_reserve_vcc 1
		.amdhsa_reserve_flat_scratch 0
		.amdhsa_float_round_mode_32 0
		.amdhsa_float_round_mode_16_64 0
		.amdhsa_float_denorm_mode_32 3
		.amdhsa_float_denorm_mode_16_64 3
		.amdhsa_dx10_clamp 1
		.amdhsa_ieee_mode 1
		.amdhsa_fp16_overflow 0
		.amdhsa_tg_split 0
		.amdhsa_exception_fp_ieee_invalid_op 0
		.amdhsa_exception_fp_denorm_src 0
		.amdhsa_exception_fp_ieee_div_zero 0
		.amdhsa_exception_fp_ieee_overflow 0
		.amdhsa_exception_fp_ieee_underflow 0
		.amdhsa_exception_fp_ieee_inexact 0
		.amdhsa_exception_int_div_zero 0
	.end_amdhsa_kernel
	.section	.text._ZN9rocsolver6v33100L16mfma_gemm_kernelI19rocblas_complex_numIdElS3_PS3_PKS4_S6_EEv18rocblas_operation_S7_T0_S8_S8_T1_T2_lS8_S8_lT3_lS8_S8_lS9_T4_lS8_S8_l,"axG",@progbits,_ZN9rocsolver6v33100L16mfma_gemm_kernelI19rocblas_complex_numIdElS3_PS3_PKS4_S6_EEv18rocblas_operation_S7_T0_S8_S8_T1_T2_lS8_S8_lT3_lS8_S8_lS9_T4_lS8_S8_l,comdat
.Lfunc_end43:
	.size	_ZN9rocsolver6v33100L16mfma_gemm_kernelI19rocblas_complex_numIdElS3_PS3_PKS4_S6_EEv18rocblas_operation_S7_T0_S8_S8_T1_T2_lS8_S8_lT3_lS8_S8_lS9_T4_lS8_S8_l, .Lfunc_end43-_ZN9rocsolver6v33100L16mfma_gemm_kernelI19rocblas_complex_numIdElS3_PS3_PKS4_S6_EEv18rocblas_operation_S7_T0_S8_S8_T1_T2_lS8_S8_lT3_lS8_S8_lS9_T4_lS8_S8_l
                                        ; -- End function
	.section	.AMDGPU.csdata,"",@progbits
; Kernel info:
; codeLenInByte = 2996
; NumSgprs: 65
; NumVgprs: 70
; NumAgprs: 0
; TotalNumVgprs: 70
; ScratchSize: 0
; MemoryBound: 1
; FloatMode: 240
; IeeeMode: 1
; LDSByteSize: 0 bytes/workgroup (compile time only)
; SGPRBlocks: 8
; VGPRBlocks: 8
; NumSGPRsForWavesPerEU: 65
; NumVGPRsForWavesPerEU: 70
; AccumOffset: 72
; Occupancy: 7
; WaveLimiterHint : 1
; COMPUTE_PGM_RSRC2:SCRATCH_EN: 0
; COMPUTE_PGM_RSRC2:USER_SGPR: 6
; COMPUTE_PGM_RSRC2:TRAP_HANDLER: 0
; COMPUTE_PGM_RSRC2:TGID_X_EN: 1
; COMPUTE_PGM_RSRC2:TGID_Y_EN: 1
; COMPUTE_PGM_RSRC2:TGID_Z_EN: 1
; COMPUTE_PGM_RSRC2:TIDIG_COMP_CNT: 1
; COMPUTE_PGM_RSRC3_GFX90A:ACCUM_OFFSET: 17
; COMPUTE_PGM_RSRC3_GFX90A:TG_SPLIT: 0
	.section	.text._ZN9rocsolver6v33100L11gemm_kernelI19rocblas_complex_numIdElPKS3_PS3_PKS6_S8_EEvT0_S9_S9_T1_bT2_lS9_S9_lbT3_lS9_S9_lSA_T4_lS9_S9_l,"axG",@progbits,_ZN9rocsolver6v33100L11gemm_kernelI19rocblas_complex_numIdElPKS3_PS3_PKS6_S8_EEvT0_S9_S9_T1_bT2_lS9_S9_lbT3_lS9_S9_lSA_T4_lS9_S9_l,comdat
	.globl	_ZN9rocsolver6v33100L11gemm_kernelI19rocblas_complex_numIdElPKS3_PS3_PKS6_S8_EEvT0_S9_S9_T1_bT2_lS9_S9_lbT3_lS9_S9_lSA_T4_lS9_S9_l ; -- Begin function _ZN9rocsolver6v33100L11gemm_kernelI19rocblas_complex_numIdElPKS3_PS3_PKS6_S8_EEvT0_S9_S9_T1_bT2_lS9_S9_lbT3_lS9_S9_lSA_T4_lS9_S9_l
	.p2align	8
	.type	_ZN9rocsolver6v33100L11gemm_kernelI19rocblas_complex_numIdElPKS3_PS3_PKS6_S8_EEvT0_S9_S9_T1_bT2_lS9_S9_lbT3_lS9_S9_lSA_T4_lS9_S9_l,@function
_ZN9rocsolver6v33100L11gemm_kernelI19rocblas_complex_numIdElPKS3_PS3_PKS6_S8_EEvT0_S9_S9_T1_bT2_lS9_S9_lbT3_lS9_S9_lSA_T4_lS9_S9_l: ; @_ZN9rocsolver6v33100L11gemm_kernelI19rocblas_complex_numIdElPKS3_PS3_PKS6_S8_EEvT0_S9_S9_T1_bT2_lS9_S9_lbT3_lS9_S9_lSA_T4_lS9_S9_l
; %bb.0:
	s_load_dword s0, s[4:5], 0xbc
	s_load_dwordx8 s[16:23], s[4:5], 0x0
	v_and_b32_e32 v4, 0x3ff, v0
	v_mov_b32_e32 v5, 0
	v_mov_b32_e32 v1, s6
	s_waitcnt lgkmcnt(0)
	s_lshr_b32 s2, s0, 16
	s_and_b32 s0, s0, 0xffff
	v_mad_u64_u32 v[2:3], s[0:1], s0, v1, v[4:5]
	v_bfe_u32 v4, v0, 10, 10
	v_mov_b32_e32 v0, s7
	v_mad_u64_u32 v[0:1], s[0:1], s2, v0, v[4:5]
	v_cmp_gt_i64_e32 vcc, s[16:17], v[2:3]
	v_cmp_gt_i64_e64 s[0:1], s[18:19], v[0:1]
	s_mov_b32 s9, 0
	s_and_b64 s[0:1], vcc, s[0:1]
	s_and_saveexec_b64 s[2:3], s[0:1]
	s_cbranch_execz .LBB44_5
; %bb.1:
	s_load_dwordx8 s[12:19], s[4:5], 0x80
	s_load_dwordx2 s[10:11], s[4:5], 0xa0
	s_lshl_b64 s[0:1], s[8:9], 3
	v_cmp_lt_i64_e64 s[2:3], s[20:21], 1
	v_pk_mov_b32 v[4:5], 0, 0
	s_waitcnt lgkmcnt(0)
	s_add_u32 s6, s14, s0
	s_addc_u32 s7, s15, s1
	s_load_dwordx2 s[14:15], s[6:7], 0x0
	s_and_b64 vcc, exec, s[2:3]
	v_pk_mov_b32 v[6:7], v[4:5], v[4:5] op_sel:[0,1]
	s_cbranch_vccnz .LBB44_4
; %bb.2:
	s_load_dwordx8 s[24:31], s[4:5], 0x58
	s_load_dword s9, s[4:5], 0x20
	s_load_dwordx8 s[36:43], s[4:5], 0x28
	s_load_dwordx2 s[2:3], s[4:5], 0x48
	s_load_dword s33, s[4:5], 0x50
	s_waitcnt lgkmcnt(0)
	s_add_u32 s0, s24, s0
	s_addc_u32 s1, s25, s1
	s_bitcmp1_b32 s9, 0
	v_mad_u64_u32 v[4:5], s[4:5], s40, v2, 0
	s_cselect_b64 vcc, -1, 0
	s_bitcmp1_b32 s33, 0
	s_mul_i32 s3, s3, s8
	s_mul_hi_u32 s4, s2, s8
	s_load_dwordx2 s[6:7], s[0:1], 0x0
	s_cselect_b64 s[0:1], -1, 0
	s_add_i32 s3, s4, s3
	s_mul_i32 s2, s2, s8
	s_lshl_b64 s[2:3], s[2:3], 4
	s_lshl_b64 s[4:5], s[38:39], 4
	s_add_u32 s4, s36, s4
	v_mul_lo_u32 v6, s41, v2
	v_mul_lo_u32 v7, s40, v3
	s_addc_u32 s5, s37, s5
	v_add3_u32 v5, v5, v7, v6
	s_add_u32 s2, s4, s2
	v_lshlrev_b64 v[4:5], 4, v[4:5]
	s_addc_u32 s3, s5, s3
	v_mov_b32_e32 v6, s3
	v_add_co_u32_e64 v4, s[2:3], s2, v4
	v_addc_co_u32_e64 v5, s[2:3], v6, v5, s[2:3]
	v_add_co_u32_e64 v8, s[2:3], 8, v4
	v_addc_co_u32_e64 v9, s[2:3], 0, v5, s[2:3]
	v_mad_u64_u32 v[4:5], s[2:3], s30, v0, 0
	s_lshl_b64 s[4:5], s[42:43], 4
	v_mul_lo_u32 v6, s31, v0
	v_mul_lo_u32 v7, s30, v1
	s_lshl_b64 s[2:3], s[26:27], 4
	v_add3_u32 v5, v5, v7, v6
	s_waitcnt lgkmcnt(0)
	s_add_u32 s2, s6, s2
	v_lshlrev_b64 v[4:5], 4, v[4:5]
	s_addc_u32 s3, s7, s3
	v_mov_b32_e32 v6, s3
	v_add_co_u32_e64 v4, s[2:3], s2, v4
	v_addc_co_u32_e64 v5, s[2:3], v6, v5, s[2:3]
	v_add_co_u32_e64 v10, s[2:3], 8, v4
	v_addc_co_u32_e64 v11, s[2:3], 0, v5, s[2:3]
	s_lshl_b64 s[6:7], s[28:29], 4
	v_pk_mov_b32 v[4:5], 0, 0
	v_mov_b32_e32 v12, s5
	v_mov_b32_e32 v13, s7
	v_pk_mov_b32 v[6:7], v[4:5], v[4:5] op_sel:[0,1]
.LBB44_3:                               ; =>This Inner Loop Header: Depth=1
	global_load_dwordx4 v[14:17], v[8:9], off offset:-8
	global_load_dwordx4 v[18:21], v[10:11], off offset:-8
	v_add_co_u32_e64 v8, s[2:3], s4, v8
	s_add_u32 s20, s20, -1
	v_addc_co_u32_e64 v9, s[2:3], v9, v12, s[2:3]
	v_add_co_u32_e64 v10, s[2:3], s6, v10
	s_addc_u32 s21, s21, -1
	v_addc_co_u32_e64 v11, s[2:3], v11, v13, s[2:3]
	s_cmp_eq_u64 s[20:21], 0
	s_waitcnt vmcnt(1)
	v_xor_b32_e32 v22, 0x80000000, v17
	s_waitcnt vmcnt(0)
	v_xor_b32_e32 v23, 0x80000000, v21
	v_cndmask_b32_e32 v17, v17, v22, vcc
	v_cndmask_b32_e64 v21, v21, v23, s[0:1]
	v_mul_f64 v[22:23], v[16:17], v[20:21]
	v_mul_f64 v[16:17], v[16:17], v[18:19]
	v_fma_f64 v[18:19], v[14:15], v[18:19], -v[22:23]
	v_fmac_f64_e32 v[16:17], v[14:15], v[20:21]
	v_add_f64 v[6:7], v[6:7], v[18:19]
	v_add_f64 v[4:5], v[4:5], v[16:17]
	s_cbranch_scc0 .LBB44_3
.LBB44_4:
	s_lshl_b64 s[8:9], s[16:17], 4
	s_load_dwordx4 s[4:7], s[22:23], 0x0
	s_load_dwordx4 s[0:3], s[12:13], 0x0
	s_waitcnt lgkmcnt(0)
	s_add_u32 s12, s14, s8
	s_addc_u32 s13, s15, s9
	v_mul_lo_u32 v8, v3, s18
	v_mul_lo_u32 v9, v2, s19
	v_mad_u64_u32 v[2:3], s[8:9], v2, s18, 0
	v_add3_u32 v3, v3, v9, v8
	v_mul_lo_u32 v8, v1, s10
	v_mul_lo_u32 v9, v0, s11
	v_mad_u64_u32 v[0:1], s[8:9], v0, s10, 0
	v_lshlrev_b64 v[2:3], 4, v[2:3]
	v_add3_u32 v1, v1, v9, v8
	v_mov_b32_e32 v8, s13
	v_add_co_u32_e32 v2, vcc, s12, v2
	v_addc_co_u32_e32 v3, vcc, v8, v3, vcc
	v_lshlrev_b64 v[0:1], 4, v[0:1]
	v_add_co_u32_e32 v8, vcc, v2, v0
	v_addc_co_u32_e32 v9, vcc, v3, v1, vcc
	global_load_dwordx4 v[0:3], v[8:9], off
	v_mul_f64 v[10:11], s[6:7], v[4:5]
	v_mul_f64 v[4:5], s[4:5], v[4:5]
	v_fma_f64 v[10:11], s[4:5], v[6:7], -v[10:11]
	v_fmac_f64_e32 v[4:5], s[6:7], v[6:7]
	s_waitcnt vmcnt(0)
	v_mul_f64 v[6:7], s[2:3], v[2:3]
	v_mul_f64 v[2:3], s[0:1], v[2:3]
	v_fma_f64 v[6:7], s[0:1], v[0:1], -v[6:7]
	v_fmac_f64_e32 v[2:3], s[2:3], v[0:1]
	v_add_f64 v[0:1], v[10:11], v[6:7]
	v_add_f64 v[2:3], v[4:5], v[2:3]
	global_store_dwordx4 v[8:9], v[0:3], off
.LBB44_5:
	s_endpgm
	.section	.rodata,"a",@progbits
	.p2align	6, 0x0
	.amdhsa_kernel _ZN9rocsolver6v33100L11gemm_kernelI19rocblas_complex_numIdElPKS3_PS3_PKS6_S8_EEvT0_S9_S9_T1_bT2_lS9_S9_lbT3_lS9_S9_lSA_T4_lS9_S9_l
		.amdhsa_group_segment_fixed_size 0
		.amdhsa_private_segment_fixed_size 0
		.amdhsa_kernarg_size 432
		.amdhsa_user_sgpr_count 6
		.amdhsa_user_sgpr_private_segment_buffer 1
		.amdhsa_user_sgpr_dispatch_ptr 0
		.amdhsa_user_sgpr_queue_ptr 0
		.amdhsa_user_sgpr_kernarg_segment_ptr 1
		.amdhsa_user_sgpr_dispatch_id 0
		.amdhsa_user_sgpr_flat_scratch_init 0
		.amdhsa_user_sgpr_kernarg_preload_length 0
		.amdhsa_user_sgpr_kernarg_preload_offset 0
		.amdhsa_user_sgpr_private_segment_size 0
		.amdhsa_uses_dynamic_stack 0
		.amdhsa_system_sgpr_private_segment_wavefront_offset 0
		.amdhsa_system_sgpr_workgroup_id_x 1
		.amdhsa_system_sgpr_workgroup_id_y 1
		.amdhsa_system_sgpr_workgroup_id_z 1
		.amdhsa_system_sgpr_workgroup_info 0
		.amdhsa_system_vgpr_workitem_id 1
		.amdhsa_next_free_vgpr 24
		.amdhsa_next_free_sgpr 44
		.amdhsa_accum_offset 24
		.amdhsa_reserve_vcc 1
		.amdhsa_reserve_flat_scratch 0
		.amdhsa_float_round_mode_32 0
		.amdhsa_float_round_mode_16_64 0
		.amdhsa_float_denorm_mode_32 3
		.amdhsa_float_denorm_mode_16_64 3
		.amdhsa_dx10_clamp 1
		.amdhsa_ieee_mode 1
		.amdhsa_fp16_overflow 0
		.amdhsa_tg_split 0
		.amdhsa_exception_fp_ieee_invalid_op 0
		.amdhsa_exception_fp_denorm_src 0
		.amdhsa_exception_fp_ieee_div_zero 0
		.amdhsa_exception_fp_ieee_overflow 0
		.amdhsa_exception_fp_ieee_underflow 0
		.amdhsa_exception_fp_ieee_inexact 0
		.amdhsa_exception_int_div_zero 0
	.end_amdhsa_kernel
	.section	.text._ZN9rocsolver6v33100L11gemm_kernelI19rocblas_complex_numIdElPKS3_PS3_PKS6_S8_EEvT0_S9_S9_T1_bT2_lS9_S9_lbT3_lS9_S9_lSA_T4_lS9_S9_l,"axG",@progbits,_ZN9rocsolver6v33100L11gemm_kernelI19rocblas_complex_numIdElPKS3_PS3_PKS6_S8_EEvT0_S9_S9_T1_bT2_lS9_S9_lbT3_lS9_S9_lSA_T4_lS9_S9_l,comdat
.Lfunc_end44:
	.size	_ZN9rocsolver6v33100L11gemm_kernelI19rocblas_complex_numIdElPKS3_PS3_PKS6_S8_EEvT0_S9_S9_T1_bT2_lS9_S9_lbT3_lS9_S9_lSA_T4_lS9_S9_l, .Lfunc_end44-_ZN9rocsolver6v33100L11gemm_kernelI19rocblas_complex_numIdElPKS3_PS3_PKS6_S8_EEvT0_S9_S9_T1_bT2_lS9_S9_lbT3_lS9_S9_lSA_T4_lS9_S9_l
                                        ; -- End function
	.section	.AMDGPU.csdata,"",@progbits
; Kernel info:
; codeLenInByte = 864
; NumSgprs: 48
; NumVgprs: 24
; NumAgprs: 0
; TotalNumVgprs: 24
; ScratchSize: 0
; MemoryBound: 0
; FloatMode: 240
; IeeeMode: 1
; LDSByteSize: 0 bytes/workgroup (compile time only)
; SGPRBlocks: 5
; VGPRBlocks: 2
; NumSGPRsForWavesPerEU: 48
; NumVGPRsForWavesPerEU: 24
; AccumOffset: 24
; Occupancy: 8
; WaveLimiterHint : 1
; COMPUTE_PGM_RSRC2:SCRATCH_EN: 0
; COMPUTE_PGM_RSRC2:USER_SGPR: 6
; COMPUTE_PGM_RSRC2:TRAP_HANDLER: 0
; COMPUTE_PGM_RSRC2:TGID_X_EN: 1
; COMPUTE_PGM_RSRC2:TGID_Y_EN: 1
; COMPUTE_PGM_RSRC2:TGID_Z_EN: 1
; COMPUTE_PGM_RSRC2:TIDIG_COMP_CNT: 1
; COMPUTE_PGM_RSRC3_GFX90A:ACCUM_OFFSET: 5
; COMPUTE_PGM_RSRC3_GFX90A:TG_SPLIT: 0
	.section	.text._ZN9rocsolver6v33100L11gemm_kernelI19rocblas_complex_numIdElS3_PS3_PKS4_S6_EEvT0_S7_S7_T1_bT2_lS7_S7_lbT3_lS7_S7_lS8_T4_lS7_S7_l,"axG",@progbits,_ZN9rocsolver6v33100L11gemm_kernelI19rocblas_complex_numIdElS3_PS3_PKS4_S6_EEvT0_S7_S7_T1_bT2_lS7_S7_lbT3_lS7_S7_lS8_T4_lS7_S7_l,comdat
	.globl	_ZN9rocsolver6v33100L11gemm_kernelI19rocblas_complex_numIdElS3_PS3_PKS4_S6_EEvT0_S7_S7_T1_bT2_lS7_S7_lbT3_lS7_S7_lS8_T4_lS7_S7_l ; -- Begin function _ZN9rocsolver6v33100L11gemm_kernelI19rocblas_complex_numIdElS3_PS3_PKS4_S6_EEvT0_S7_S7_T1_bT2_lS7_S7_lbT3_lS7_S7_lS8_T4_lS7_S7_l
	.p2align	8
	.type	_ZN9rocsolver6v33100L11gemm_kernelI19rocblas_complex_numIdElS3_PS3_PKS4_S6_EEvT0_S7_S7_T1_bT2_lS7_S7_lbT3_lS7_S7_lS8_T4_lS7_S7_l,@function
_ZN9rocsolver6v33100L11gemm_kernelI19rocblas_complex_numIdElS3_PS3_PKS4_S6_EEvT0_S7_S7_T1_bT2_lS7_S7_lbT3_lS7_S7_lS8_T4_lS7_S7_l: ; @_ZN9rocsolver6v33100L11gemm_kernelI19rocblas_complex_numIdElS3_PS3_PKS4_S6_EEvT0_S7_S7_T1_bT2_lS7_S7_lbT3_lS7_S7_lS8_T4_lS7_S7_l
; %bb.0:
	s_load_dword s0, s[4:5], 0xcc
	s_load_dwordx8 s[12:19], s[4:5], 0x0
	v_and_b32_e32 v4, 0x3ff, v0
	v_mov_b32_e32 v5, 0
	v_mov_b32_e32 v1, s6
	s_waitcnt lgkmcnt(0)
	s_lshr_b32 s2, s0, 16
	s_and_b32 s0, s0, 0xffff
	v_mad_u64_u32 v[2:3], s[0:1], s0, v1, v[4:5]
	v_bfe_u32 v4, v0, 10, 10
	v_mov_b32_e32 v0, s7
	v_mad_u64_u32 v[0:1], s[0:1], s2, v0, v[4:5]
	v_cmp_gt_i64_e32 vcc, s[12:13], v[2:3]
	v_cmp_gt_i64_e64 s[0:1], s[14:15], v[0:1]
	s_mov_b32 s9, 0
	s_and_b64 s[0:1], vcc, s[0:1]
	s_and_saveexec_b64 s[2:3], s[0:1]
	s_cbranch_execz .LBB45_5
; %bb.1:
	s_load_dwordx8 s[20:27], s[4:5], 0x88
	s_load_dwordx2 s[6:7], s[4:5], 0x20
	s_load_dwordx4 s[12:15], s[4:5], 0xa8
	s_lshl_b64 s[0:1], s[8:9], 3
	v_cmp_lt_i64_e64 s[2:3], s[16:17], 1
	s_waitcnt lgkmcnt(0)
	s_add_u32 s10, s24, s0
	s_addc_u32 s11, s25, s1
	s_load_dwordx2 s[10:11], s[10:11], 0x0
	v_pk_mov_b32 v[4:5], 0, 0
	s_and_b64 vcc, exec, s[2:3]
	v_pk_mov_b32 v[6:7], v[4:5], v[4:5] op_sel:[0,1]
	s_cbranch_vccnz .LBB45_4
; %bb.2:
	s_load_dwordx8 s[36:43], s[4:5], 0x60
	s_load_dword s9, s[4:5], 0x28
	s_load_dwordx8 s[44:51], s[4:5], 0x30
	s_load_dwordx2 s[2:3], s[4:5], 0x50
	s_load_dword s28, s[4:5], 0x58
	s_waitcnt lgkmcnt(0)
	s_add_u32 s0, s36, s0
	s_addc_u32 s1, s37, s1
	s_bitcmp1_b32 s9, 0
	v_mad_u64_u32 v[4:5], s[4:5], s48, v2, 0
	s_cselect_b64 vcc, -1, 0
	s_bitcmp1_b32 s28, 0
	s_mul_i32 s3, s3, s8
	s_mul_hi_u32 s4, s2, s8
	s_load_dwordx2 s[24:25], s[0:1], 0x0
	s_cselect_b64 s[0:1], -1, 0
	s_add_i32 s3, s4, s3
	s_mul_i32 s2, s2, s8
	s_lshl_b64 s[2:3], s[2:3], 4
	s_lshl_b64 s[4:5], s[46:47], 4
	s_add_u32 s4, s44, s4
	v_mul_lo_u32 v6, s49, v2
	v_mul_lo_u32 v7, s48, v3
	s_addc_u32 s5, s45, s5
	v_add3_u32 v5, v5, v7, v6
	s_add_u32 s2, s4, s2
	v_lshlrev_b64 v[4:5], 4, v[4:5]
	s_addc_u32 s3, s5, s3
	v_mov_b32_e32 v6, s3
	v_add_co_u32_e64 v4, s[2:3], s2, v4
	v_addc_co_u32_e64 v5, s[2:3], v6, v5, s[2:3]
	v_add_co_u32_e64 v8, s[2:3], 8, v4
	v_addc_co_u32_e64 v9, s[2:3], 0, v5, s[2:3]
	v_mad_u64_u32 v[4:5], s[2:3], s42, v0, 0
	s_lshl_b64 s[4:5], s[50:51], 4
	v_mul_lo_u32 v6, s43, v0
	v_mul_lo_u32 v7, s42, v1
	s_lshl_b64 s[2:3], s[38:39], 4
	v_add3_u32 v5, v5, v7, v6
	s_waitcnt lgkmcnt(0)
	s_add_u32 s2, s24, s2
	v_lshlrev_b64 v[4:5], 4, v[4:5]
	s_addc_u32 s3, s25, s3
	v_mov_b32_e32 v6, s3
	v_add_co_u32_e64 v4, s[2:3], s2, v4
	v_addc_co_u32_e64 v5, s[2:3], v6, v5, s[2:3]
	v_add_co_u32_e64 v10, s[2:3], 8, v4
	v_addc_co_u32_e64 v11, s[2:3], 0, v5, s[2:3]
	s_lshl_b64 s[8:9], s[40:41], 4
	v_pk_mov_b32 v[4:5], 0, 0
	v_mov_b32_e32 v12, s5
	v_mov_b32_e32 v13, s9
	v_pk_mov_b32 v[6:7], v[4:5], v[4:5] op_sel:[0,1]
.LBB45_3:                               ; =>This Inner Loop Header: Depth=1
	global_load_dwordx4 v[14:17], v[8:9], off offset:-8
	global_load_dwordx4 v[18:21], v[10:11], off offset:-8
	v_add_co_u32_e64 v8, s[2:3], s4, v8
	s_add_u32 s16, s16, -1
	v_addc_co_u32_e64 v9, s[2:3], v9, v12, s[2:3]
	v_add_co_u32_e64 v10, s[2:3], s8, v10
	s_addc_u32 s17, s17, -1
	v_addc_co_u32_e64 v11, s[2:3], v11, v13, s[2:3]
	s_cmp_eq_u64 s[16:17], 0
	s_waitcnt vmcnt(1)
	v_xor_b32_e32 v22, 0x80000000, v17
	s_waitcnt vmcnt(0)
	v_xor_b32_e32 v23, 0x80000000, v21
	v_cndmask_b32_e32 v17, v17, v22, vcc
	v_cndmask_b32_e64 v21, v21, v23, s[0:1]
	v_mul_f64 v[22:23], v[16:17], v[20:21]
	v_mul_f64 v[16:17], v[16:17], v[18:19]
	v_fma_f64 v[18:19], v[14:15], v[18:19], -v[22:23]
	v_fmac_f64_e32 v[16:17], v[14:15], v[20:21]
	v_add_f64 v[6:7], v[6:7], v[18:19]
	v_add_f64 v[4:5], v[4:5], v[16:17]
	s_cbranch_scc0 .LBB45_3
.LBB45_4:
	s_lshl_b64 s[0:1], s[26:27], 4
	s_waitcnt lgkmcnt(0)
	s_add_u32 s2, s10, s0
	s_addc_u32 s3, s11, s1
	v_mul_lo_u32 v8, v3, s12
	v_mul_lo_u32 v9, v2, s13
	v_mad_u64_u32 v[2:3], s[0:1], v2, s12, 0
	v_add3_u32 v3, v3, v9, v8
	v_mul_lo_u32 v8, v1, s14
	v_mul_lo_u32 v9, v0, s15
	v_mad_u64_u32 v[0:1], s[0:1], v0, s14, 0
	v_lshlrev_b64 v[2:3], 4, v[2:3]
	v_add3_u32 v1, v1, v9, v8
	v_mov_b32_e32 v8, s3
	v_add_co_u32_e32 v2, vcc, s2, v2
	v_addc_co_u32_e32 v3, vcc, v8, v3, vcc
	v_lshlrev_b64 v[0:1], 4, v[0:1]
	v_add_co_u32_e32 v8, vcc, v2, v0
	v_addc_co_u32_e32 v9, vcc, v3, v1, vcc
	global_load_dwordx4 v[0:3], v[8:9], off
	v_mul_f64 v[10:11], s[6:7], v[4:5]
	v_mul_f64 v[4:5], s[18:19], v[4:5]
	v_fma_f64 v[10:11], s[18:19], v[6:7], -v[10:11]
	v_fmac_f64_e32 v[4:5], s[6:7], v[6:7]
	s_waitcnt vmcnt(0)
	v_mul_f64 v[6:7], s[22:23], v[2:3]
	v_mul_f64 v[2:3], s[20:21], v[2:3]
	v_fma_f64 v[6:7], s[20:21], v[0:1], -v[6:7]
	v_fmac_f64_e32 v[2:3], s[22:23], v[0:1]
	v_add_f64 v[0:1], v[10:11], v[6:7]
	v_add_f64 v[2:3], v[4:5], v[2:3]
	global_store_dwordx4 v[8:9], v[0:3], off
.LBB45_5:
	s_endpgm
	.section	.rodata,"a",@progbits
	.p2align	6, 0x0
	.amdhsa_kernel _ZN9rocsolver6v33100L11gemm_kernelI19rocblas_complex_numIdElS3_PS3_PKS4_S6_EEvT0_S7_S7_T1_bT2_lS7_S7_lbT3_lS7_S7_lS8_T4_lS7_S7_l
		.amdhsa_group_segment_fixed_size 0
		.amdhsa_private_segment_fixed_size 0
		.amdhsa_kernarg_size 448
		.amdhsa_user_sgpr_count 6
		.amdhsa_user_sgpr_private_segment_buffer 1
		.amdhsa_user_sgpr_dispatch_ptr 0
		.amdhsa_user_sgpr_queue_ptr 0
		.amdhsa_user_sgpr_kernarg_segment_ptr 1
		.amdhsa_user_sgpr_dispatch_id 0
		.amdhsa_user_sgpr_flat_scratch_init 0
		.amdhsa_user_sgpr_kernarg_preload_length 0
		.amdhsa_user_sgpr_kernarg_preload_offset 0
		.amdhsa_user_sgpr_private_segment_size 0
		.amdhsa_uses_dynamic_stack 0
		.amdhsa_system_sgpr_private_segment_wavefront_offset 0
		.amdhsa_system_sgpr_workgroup_id_x 1
		.amdhsa_system_sgpr_workgroup_id_y 1
		.amdhsa_system_sgpr_workgroup_id_z 1
		.amdhsa_system_sgpr_workgroup_info 0
		.amdhsa_system_vgpr_workitem_id 1
		.amdhsa_next_free_vgpr 24
		.amdhsa_next_free_sgpr 52
		.amdhsa_accum_offset 24
		.amdhsa_reserve_vcc 1
		.amdhsa_reserve_flat_scratch 0
		.amdhsa_float_round_mode_32 0
		.amdhsa_float_round_mode_16_64 0
		.amdhsa_float_denorm_mode_32 3
		.amdhsa_float_denorm_mode_16_64 3
		.amdhsa_dx10_clamp 1
		.amdhsa_ieee_mode 1
		.amdhsa_fp16_overflow 0
		.amdhsa_tg_split 0
		.amdhsa_exception_fp_ieee_invalid_op 0
		.amdhsa_exception_fp_denorm_src 0
		.amdhsa_exception_fp_ieee_div_zero 0
		.amdhsa_exception_fp_ieee_overflow 0
		.amdhsa_exception_fp_ieee_underflow 0
		.amdhsa_exception_fp_ieee_inexact 0
		.amdhsa_exception_int_div_zero 0
	.end_amdhsa_kernel
	.section	.text._ZN9rocsolver6v33100L11gemm_kernelI19rocblas_complex_numIdElS3_PS3_PKS4_S6_EEvT0_S7_S7_T1_bT2_lS7_S7_lbT3_lS7_S7_lS8_T4_lS7_S7_l,"axG",@progbits,_ZN9rocsolver6v33100L11gemm_kernelI19rocblas_complex_numIdElS3_PS3_PKS4_S6_EEvT0_S7_S7_T1_bT2_lS7_S7_lbT3_lS7_S7_lS8_T4_lS7_S7_l,comdat
.Lfunc_end45:
	.size	_ZN9rocsolver6v33100L11gemm_kernelI19rocblas_complex_numIdElS3_PS3_PKS4_S6_EEvT0_S7_S7_T1_bT2_lS7_S7_lbT3_lS7_S7_lS8_T4_lS7_S7_l, .Lfunc_end45-_ZN9rocsolver6v33100L11gemm_kernelI19rocblas_complex_numIdElS3_PS3_PKS4_S6_EEvT0_S7_S7_T1_bT2_lS7_S7_lbT3_lS7_S7_lS8_T4_lS7_S7_l
                                        ; -- End function
	.section	.AMDGPU.csdata,"",@progbits
; Kernel info:
; codeLenInByte = 856
; NumSgprs: 56
; NumVgprs: 24
; NumAgprs: 0
; TotalNumVgprs: 24
; ScratchSize: 0
; MemoryBound: 0
; FloatMode: 240
; IeeeMode: 1
; LDSByteSize: 0 bytes/workgroup (compile time only)
; SGPRBlocks: 6
; VGPRBlocks: 2
; NumSGPRsForWavesPerEU: 56
; NumVGPRsForWavesPerEU: 24
; AccumOffset: 24
; Occupancy: 8
; WaveLimiterHint : 1
; COMPUTE_PGM_RSRC2:SCRATCH_EN: 0
; COMPUTE_PGM_RSRC2:USER_SGPR: 6
; COMPUTE_PGM_RSRC2:TRAP_HANDLER: 0
; COMPUTE_PGM_RSRC2:TGID_X_EN: 1
; COMPUTE_PGM_RSRC2:TGID_Y_EN: 1
; COMPUTE_PGM_RSRC2:TGID_Z_EN: 1
; COMPUTE_PGM_RSRC2:TIDIG_COMP_CNT: 1
; COMPUTE_PGM_RSRC3_GFX90A:ACCUM_OFFSET: 5
; COMPUTE_PGM_RSRC3_GFX90A:TG_SPLIT: 0
	.section	.text._ZN9rocsolver6v33100L16mfma_gemm_kernelI19rocblas_complex_numIdElPKS3_PKPS3_S6_S8_EEv18rocblas_operation_S9_T0_SA_SA_T1_T2_lSA_SA_lT3_lSA_SA_lSB_T4_lSA_SA_l,"axG",@progbits,_ZN9rocsolver6v33100L16mfma_gemm_kernelI19rocblas_complex_numIdElPKS3_PKPS3_S6_S8_EEv18rocblas_operation_S9_T0_SA_SA_T1_T2_lSA_SA_lT3_lSA_SA_lSB_T4_lSA_SA_l,comdat
	.globl	_ZN9rocsolver6v33100L16mfma_gemm_kernelI19rocblas_complex_numIdElPKS3_PKPS3_S6_S8_EEv18rocblas_operation_S9_T0_SA_SA_T1_T2_lSA_SA_lT3_lSA_SA_lSB_T4_lSA_SA_l ; -- Begin function _ZN9rocsolver6v33100L16mfma_gemm_kernelI19rocblas_complex_numIdElPKS3_PKPS3_S6_S8_EEv18rocblas_operation_S9_T0_SA_SA_T1_T2_lSA_SA_lT3_lSA_SA_lSB_T4_lSA_SA_l
	.p2align	8
	.type	_ZN9rocsolver6v33100L16mfma_gemm_kernelI19rocblas_complex_numIdElPKS3_PKPS3_S6_S8_EEv18rocblas_operation_S9_T0_SA_SA_T1_T2_lSA_SA_lT3_lSA_SA_lSB_T4_lSA_SA_l,@function
_ZN9rocsolver6v33100L16mfma_gemm_kernelI19rocblas_complex_numIdElPKS3_PKPS3_S6_S8_EEv18rocblas_operation_S9_T0_SA_SA_T1_T2_lSA_SA_lT3_lSA_SA_lSB_T4_lSA_SA_l: ; @_ZN9rocsolver6v33100L16mfma_gemm_kernelI19rocblas_complex_numIdElPKS3_PKPS3_S6_S8_EEv18rocblas_operation_S9_T0_SA_SA_T1_T2_lSA_SA_lT3_lSA_SA_lSB_T4_lSA_SA_l
; %bb.0:
	s_load_dword s0, s[4:5], 0xb4
	s_load_dwordx16 s[36:51], s[4:5], 0x8
	v_and_b32_e32 v4, 0x3ff, v0
	v_mov_b32_e32 v9, 0
	v_lshrrev_b32_e32 v8, 6, v4
	s_waitcnt lgkmcnt(0)
	s_lshr_b32 s2, s0, 16
	s_bfe_u32 s0, s0, 0xa0006
	v_bfe_u32 v0, v0, 10, 10
	v_mov_b32_e32 v1, v9
	v_mov_b32_e32 v2, s6
	;; [unrolled: 1-line block ×3, first 2 shown]
	v_mad_u64_u32 v[2:3], s[0:1], s0, v2, v[8:9]
	v_mad_u64_u32 v[0:1], s[0:1], s2, v5, v[0:1]
	v_lshlrev_b64 v[12:13], 4, v[2:3]
	v_lshlrev_b64 v[14:15], 4, v[0:1]
	v_cmp_gt_i64_e32 vcc, s[36:37], v[12:13]
	v_cmp_gt_i64_e64 s[0:1], s[38:39], v[14:15]
	s_and_b64 s[0:1], vcc, s[0:1]
	s_and_saveexec_b64 s[2:3], s[0:1]
	s_cbranch_execz .LBB46_36
; %bb.1:
	s_load_dwordx16 s[16:31], s[4:5], 0x50
	v_add_co_u32_e32 v6, vcc, 16, v12
	v_addc_co_u32_e32 v7, vcc, 0, v13, vcc
	s_and_b32 s0, s36, 15
	s_mov_b32 s9, 0
	v_mov_b32_e32 v5, s0
	v_cmp_lt_u64_e32 vcc, s[36:37], v[6:7]
	s_and_b32 s0, s38, 15
	s_lshl_b64 s[2:3], s[8:9], 3
	v_cndmask_b32_e32 v8, 16, v5, vcc
	v_add_co_u32_e32 v6, vcc, 16, v14
	v_mov_b32_e32 v5, s0
	s_waitcnt lgkmcnt(0)
	s_add_u32 s0, s28, s2
	v_addc_co_u32_e32 v7, vcc, 0, v15, vcc
	s_addc_u32 s1, s29, s3
	v_cmp_lt_u64_e32 vcc, s[38:39], v[6:7]
	s_load_dwordx4 s[52:55], s[42:43], 0x0
	s_load_dwordx4 s[36:39], s[26:27], 0x0
	v_cndmask_b32_e32 v16, 16, v5, vcc
	s_load_dwordx2 s[26:27], s[0:1], 0x0
	v_mov_b32_e32 v17, v9
	v_bfe_u32 v18, v4, 2, 4
	v_mov_b32_e32 v19, v9
	v_cmp_lt_i64_e64 s[0:1], s[40:41], 1
	v_pk_mov_b32 v[36:37], 0, 0
	v_and_b32_e32 v29, 63, v4
	v_and_b32_e32 v10, 3, v4
	v_mov_b32_e32 v11, v9
	s_mov_b64 s[28:29], 0
	s_and_b64 vcc, exec, s[0:1]
	v_cmp_lt_u64_e64 s[0:1], v[18:19], v[16:17]
	v_mbcnt_lo_u32_b32 v46, -1, 0
	v_pk_mov_b32 v[38:39], v[36:37], v[36:37] op_sel:[0,1]
	v_pk_mov_b32 v[20:21], v[36:37], v[36:37] op_sel:[0,1]
	;; [unrolled: 1-line block ×7, first 2 shown]
	s_cbranch_vccnz .LBB46_28
; %bb.2:
	s_load_dwordx2 s[12:13], s[4:5], 0x0
	v_mov_b32_e32 v5, 0
	v_and_b32_e32 v4, 15, v29
	v_lshrrev_b32_e32 v28, 4, v29
	v_cmp_lt_u64_e64 s[6:7], v[4:5], v[8:9]
	s_waitcnt lgkmcnt(0)
	s_cmpk_lg_i32 s12, 0x6f
	s_cselect_b64 s[34:35], -1, 0
	s_cmpk_lg_i32 s13, 0x6f
	s_cselect_b64 s[42:43], -1, 0
	s_cmpk_eq_i32 s13, 0x6f
	s_cselect_b32 s9, s22, s20
	s_cselect_b32 s33, s23, s21
	s_add_u32 s2, s44, s2
	s_addc_u32 s3, s45, s3
	s_cmpk_eq_i32 s12, 0x6f
	s_cselect_b32 s56, s48, s50
	s_cselect_b32 s57, s49, s51
	v_cmp_lt_u64_e64 s[14:15], v[4:5], v[16:17]
	v_mul_lo_u32 v5, s57, v2
	v_mul_lo_u32 v6, s56, v3
	v_mad_u64_u32 v[2:3], s[56:57], s56, v2, 0
	v_add3_u32 v3, v3, v6, v5
	v_mad_u64_u32 v[6:7], s[56:57], s50, v28, 0
	v_mov_b32_e32 v20, v7
	v_mad_u64_u32 v[20:21], s[56:57], s51, v28, v[20:21]
	v_mov_b32_e32 v7, v20
	v_lshlrev_b64 v[2:3], 8, v[2:3]
	v_lshlrev_b64 v[6:7], 4, v[6:7]
	v_add_co_u32_e32 v5, vcc, v2, v6
	s_load_dwordx2 s[44:45], s[2:3], 0x0
	v_addc_co_u32_e32 v23, vcc, v3, v7, vcc
	v_mad_u64_u32 v[6:7], s[56:57], s48, v4, 0
	v_mov_b32_e32 v20, v7
	s_cmpk_eq_i32 s12, 0x71
	v_mad_u64_u32 v[20:21], s[56:57], s49, v4, v[20:21]
	s_cselect_b64 s[10:11], -1, 0
	s_cmpk_eq_i32 s13, 0x71
	v_mov_b32_e32 v7, v20
	s_cselect_b64 s[12:13], -1, 0
	v_lshlrev_b64 v[6:7], 4, v[6:7]
	s_lshl_b64 s[46:47], s[46:47], 4
	v_add_co_u32_e32 v5, vcc, v5, v6
	s_waitcnt lgkmcnt(0)
	s_add_u32 s56, s44, s46
	v_addc_co_u32_e32 v6, vcc, v23, v7, vcc
	s_addc_u32 s57, s45, s47
	v_mov_b32_e32 v7, s57
	v_add_co_u32_e32 v5, vcc, s56, v5
	v_addc_co_u32_e32 v6, vcc, v7, v6, vcc
	v_add_co_u32_e32 v34, vcc, 8, v5
	v_addc_co_u32_e32 v35, vcc, 0, v6, vcc
	v_mul_lo_u32 v5, s33, v0
	v_mul_lo_u32 v6, s9, v1
	v_mad_u64_u32 v[0:1], s[46:47], s9, v0, 0
	v_add3_u32 v1, v1, v6, v5
	v_mad_u64_u32 v[6:7], s[46:47], s22, v28, 0
	v_mov_b32_e32 v20, v7
	v_mad_u64_u32 v[20:21], s[46:47], s23, v28, v[20:21]
	v_mov_b32_e32 v7, v20
	v_lshlrev_b64 v[0:1], 8, v[0:1]
	v_lshlrev_b64 v[6:7], 4, v[6:7]
	s_mul_i32 s9, s25, s8
	s_mul_hi_u32 s25, s24, s8
	v_add_co_u32_e32 v5, vcc, v0, v6
	s_add_i32 s9, s25, s9
	s_mul_i32 s8, s24, s8
	v_addc_co_u32_e32 v6, vcc, v1, v7, vcc
	s_lshl_b64 s[8:9], s[8:9], 4
	v_mov_b32_e32 v21, s9
	v_add_co_u32_e32 v23, vcc, s8, v5
	v_addc_co_u32_e32 v24, vcc, v6, v21, vcc
	v_mad_u64_u32 v[6:7], s[24:25], s20, v4, 0
	v_mov_b32_e32 v20, v7
	v_lshl_or_b32 v22, v4, 2, v28
	v_mad_u64_u32 v[4:5], s[24:25], s21, v4, v[20:21]
	v_mov_b32_e32 v7, v4
	s_lshl_b64 s[44:45], s[50:51], 6
	v_lshlrev_b64 v[4:5], 4, v[6:7]
	s_lshl_b64 s[18:19], s[18:19], 4
	v_add_co_u32_e32 v4, vcc, v23, v4
	s_add_u32 s33, s16, s18
	v_addc_co_u32_e32 v5, vcc, v24, v5, vcc
	s_addc_u32 s46, s17, s19
	v_mov_b32_e32 v6, s46
	v_add_co_u32_e32 v4, vcc, s33, v4
	v_addc_co_u32_e32 v5, vcc, v6, v5, vcc
	v_add_co_u32_e32 v40, vcc, 8, v4
	v_addc_co_u32_e32 v41, vcc, 0, v5, vcc
	v_mad_u64_u32 v[4:5], s[18:19], s50, v18, 0
	v_mov_b32_e32 v6, v5
	v_mad_u64_u32 v[6:7], s[18:19], s51, v18, v[6:7]
	v_mov_b32_e32 v5, v6
	v_lshlrev_b64 v[4:5], 4, v[4:5]
	v_add_co_u32_e32 v6, vcc, v2, v4
	v_addc_co_u32_e32 v7, vcc, v3, v5, vcc
	v_mad_u64_u32 v[2:3], s[18:19], s48, v10, 0
	v_mov_b32_e32 v4, v3
	v_mad_u64_u32 v[4:5], s[18:19], s49, v10, v[4:5]
	v_mov_b32_e32 v3, v4
	v_lshlrev_b64 v[2:3], 4, v[2:3]
	v_add_co_u32_e32 v2, vcc, v6, v2
	v_addc_co_u32_e32 v3, vcc, v7, v3, vcc
	v_mov_b32_e32 v4, s57
	v_add_co_u32_e32 v2, vcc, s56, v2
	v_addc_co_u32_e32 v3, vcc, v4, v3, vcc
	v_add_co_u32_e32 v42, vcc, 8, v2
	v_addc_co_u32_e32 v43, vcc, 0, v3, vcc
	v_mad_u64_u32 v[2:3], s[24:25], s22, v18, 0
	v_mov_b32_e32 v4, v3
	s_lshl_b64 s[16:17], s[22:23], 6
	v_mad_u64_u32 v[4:5], s[22:23], s23, v18, v[4:5]
	v_mov_b32_e32 v3, v4
	v_lshlrev_b64 v[2:3], 4, v[2:3]
	v_add_co_u32_e32 v0, vcc, v0, v2
	v_addc_co_u32_e32 v1, vcc, v1, v3, vcc
	v_add_co_u32_e32 v4, vcc, s8, v0
	v_addc_co_u32_e32 v5, vcc, v1, v21, vcc
	v_mad_u64_u32 v[0:1], s[8:9], s20, v10, 0
	v_mov_b32_e32 v2, v1
	v_mad_u64_u32 v[2:3], s[8:9], s21, v10, v[2:3]
	v_mov_b32_e32 v1, v2
	v_lshlrev_b64 v[0:1], 4, v[0:1]
	v_add_co_u32_e32 v0, vcc, v4, v0
	v_addc_co_u32_e32 v1, vcc, v5, v1, vcc
	v_mov_b32_e32 v2, s46
	v_add_co_u32_e32 v0, vcc, s33, v0
	v_addc_co_u32_e32 v1, vcc, v2, v1, vcc
	v_add_co_u32_e32 v44, vcc, 8, v0
	v_mbcnt_hi_u32_b32 v0, -1, v46
	v_pk_mov_b32 v[20:21], 0, 0
	v_and_or_b32 v0, v0, 64, v22
	v_cmp_lt_u64_e64 s[2:3], v[18:19], v[8:9]
	s_lshl_b64 s[18:19], s[48:49], 6
	v_addc_co_u32_e32 v45, vcc, 0, v1, vcc
	s_lshl_b64 s[20:21], s[20:21], 6
	v_lshlrev_b32_e32 v47, 2, v0
	v_pk_mov_b32 v[24:25], v[20:21], v[20:21] op_sel:[0,1]
	v_pk_mov_b32 v[30:31], v[20:21], v[20:21] op_sel:[0,1]
	;; [unrolled: 1-line block ×7, first 2 shown]
	s_branch .LBB46_6
.LBB46_3:                               ;   in Loop: Header=BB46_6 Depth=1
	s_or_b64 exec, exec, s[22:23]
.LBB46_4:                               ;   in Loop: Header=BB46_6 Depth=1
	s_or_b64 exec, exec, s[8:9]
	s_waitcnt vmcnt(0)
	ds_bpermute_b32 v4, v47, v4
	ds_bpermute_b32 v5, v47, v5
	ds_bpermute_b32 v6, v47, v6
	ds_bpermute_b32 v7, v47, v7
.LBB46_5:                               ;   in Loop: Header=BB46_6 Depth=1
	s_waitcnt vmcnt(0) lgkmcnt(0)
	v_xor_b32_e32 v48, 0x80000000, v3
	v_cndmask_b32_e64 v3, v3, v48, s[10:11]
	v_cndmask_b32_e64 v2, v2, v2, s[10:11]
	v_xor_b32_e32 v48, 0x80000000, v7
	v_cndmask_b32_e64 v7, v7, v48, s[12:13]
	v_cndmask_b32_e64 v6, v6, v6, s[12:13]
	v_mfma_f64_16x16x4f64 v[48:55], v[0:1], v[4:5], 0
	s_add_u32 s28, s28, 4
	s_addc_u32 s29, s29, 0
	v_add_co_u32_e64 v34, s[8:9], s44, v34
	v_mfma_f64_16x16x4f64 v[56:63], v[2:3], v[6:7], 0
	s_nop 7
	s_nop 2
	v_add_f64 v[54:55], v[54:55], -v[62:63]
	v_pk_mov_b32 v[62:63], s[40:41], s[40:41] op_sel:[0,1]
	v_cmp_ge_i64_e32 vcc, s[28:29], v[62:63]
	v_mfma_f64_16x16x4f64 v[62:69], v[0:1], v[6:7], 0
	s_and_b64 vcc, exec, vcc
	v_add_f64 v[52:53], v[52:53], -v[60:61]
	v_add_f64 v[50:51], v[50:51], -v[58:59]
	;; [unrolled: 1-line block ×3, first 2 shown]
	v_add_f64 v[36:37], v[36:37], v[48:49]
	v_add_f64 v[32:33], v[32:33], v[50:51]
	;; [unrolled: 1-line block ×4, first 2 shown]
	v_mfma_f64_16x16x4f64 v[0:7], v[2:3], v[4:5], 0
	s_nop 7
	s_nop 2
	v_add_f64 v[0:1], v[62:63], v[0:1]
	v_add_f64 v[38:39], v[38:39], v[0:1]
	v_mov_b32_e32 v0, s45
	v_addc_co_u32_e64 v35, s[8:9], v35, v0, s[8:9]
	v_mov_b32_e32 v0, s17
	v_add_co_u32_e64 v40, s[8:9], s16, v40
	v_addc_co_u32_e64 v41, s[8:9], v41, v0, s[8:9]
	v_mov_b32_e32 v0, s19
	v_add_co_u32_e64 v42, s[8:9], s18, v42
	v_addc_co_u32_e64 v43, s[8:9], v43, v0, s[8:9]
	v_add_f64 v[6:7], v[68:69], v[6:7]
	v_add_f64 v[4:5], v[66:67], v[4:5]
	;; [unrolled: 1-line block ×3, first 2 shown]
	v_mov_b32_e32 v0, s21
	v_add_co_u32_e64 v44, s[8:9], s20, v44
	v_add_f64 v[30:31], v[30:31], v[2:3]
	v_add_f64 v[24:25], v[24:25], v[4:5]
	v_add_f64 v[20:21], v[20:21], v[6:7]
	v_addc_co_u32_e64 v45, s[8:9], v45, v0, s[8:9]
	s_cbranch_vccnz .LBB46_28
.LBB46_6:                               ; =>This Inner Loop Header: Depth=1
	s_and_b64 vcc, exec, s[34:35]
	s_cbranch_vccz .LBB46_18
; %bb.7:                                ;   in Loop: Header=BB46_6 Depth=1
	v_pk_mov_b32 v[0:1], 0, 0
	s_mov_b64 s[8:9], 0
	v_pk_mov_b32 v[2:3], v[0:1], v[0:1] op_sel:[0,1]
	s_and_saveexec_b64 s[22:23], s[2:3]
	s_cbranch_execz .LBB46_11
; %bb.8:                                ;   in Loop: Header=BB46_6 Depth=1
	v_mov_b32_e32 v1, s29
	v_add_co_u32_e32 v0, vcc, s28, v10
	v_addc_co_u32_e32 v1, vcc, 0, v1, vcc
	v_pk_mov_b32 v[2:3], 0, 0
	v_cmp_gt_i64_e32 vcc, s[40:41], v[0:1]
	v_pk_mov_b32 v[0:1], v[2:3], v[2:3] op_sel:[0,1]
	s_and_saveexec_b64 s[24:25], vcc
	s_cbranch_execz .LBB46_10
; %bb.9:                                ;   in Loop: Header=BB46_6 Depth=1
	global_load_dwordx4 v[0:3], v[42:43], off offset:-8
.LBB46_10:                              ;   in Loop: Header=BB46_6 Depth=1
	s_or_b64 exec, exec, s[24:25]
.LBB46_11:                              ;   in Loop: Header=BB46_6 Depth=1
	s_or_b64 exec, exec, s[22:23]
	s_waitcnt vmcnt(0)
	ds_bpermute_b32 v0, v47, v0
	ds_bpermute_b32 v1, v47, v1
	;; [unrolled: 1-line block ×4, first 2 shown]
	s_and_b64 vcc, exec, s[8:9]
	s_cbranch_vccnz .LBB46_19
.LBB46_12:                              ;   in Loop: Header=BB46_6 Depth=1
	s_and_b64 vcc, exec, s[42:43]
	s_cbranch_vccz .LBB46_24
.LBB46_13:                              ;   in Loop: Header=BB46_6 Depth=1
	v_pk_mov_b32 v[6:7], 0, 0
	s_mov_b64 s[8:9], 0
	v_pk_mov_b32 v[4:5], v[6:7], v[6:7] op_sel:[0,1]
	s_and_saveexec_b64 s[22:23], s[14:15]
	s_cbranch_execz .LBB46_17
; %bb.14:                               ;   in Loop: Header=BB46_6 Depth=1
	v_mov_b32_e32 v5, s29
	v_add_co_u32_e32 v4, vcc, s28, v28
	v_addc_co_u32_e32 v5, vcc, 0, v5, vcc
	v_pk_mov_b32 v[6:7], 0, 0
	v_cmp_gt_i64_e32 vcc, s[40:41], v[4:5]
	v_pk_mov_b32 v[4:5], v[6:7], v[6:7] op_sel:[0,1]
	s_and_saveexec_b64 s[24:25], vcc
	s_cbranch_execz .LBB46_16
; %bb.15:                               ;   in Loop: Header=BB46_6 Depth=1
	global_load_dwordx4 v[4:7], v[40:41], off offset:-8
.LBB46_16:                              ;   in Loop: Header=BB46_6 Depth=1
	s_or_b64 exec, exec, s[24:25]
.LBB46_17:                              ;   in Loop: Header=BB46_6 Depth=1
	s_or_b64 exec, exec, s[22:23]
	s_andn2_b64 vcc, exec, s[8:9]
	s_cbranch_vccnz .LBB46_5
	s_branch .LBB46_25
.LBB46_18:                              ;   in Loop: Header=BB46_6 Depth=1
                                        ; implicit-def: $vgpr2_vgpr3
	s_cbranch_execz .LBB46_12
.LBB46_19:                              ;   in Loop: Header=BB46_6 Depth=1
	s_waitcnt lgkmcnt(0)
	v_pk_mov_b32 v[2:3], 0, 0
	v_pk_mov_b32 v[0:1], v[2:3], v[2:3] op_sel:[0,1]
	s_and_saveexec_b64 s[8:9], s[6:7]
	s_cbranch_execz .LBB46_23
; %bb.20:                               ;   in Loop: Header=BB46_6 Depth=1
	v_mov_b32_e32 v1, s29
	v_add_co_u32_e32 v0, vcc, s28, v28
	v_addc_co_u32_e32 v1, vcc, 0, v1, vcc
	v_pk_mov_b32 v[2:3], 0, 0
	v_cmp_gt_i64_e32 vcc, s[40:41], v[0:1]
	v_pk_mov_b32 v[0:1], v[2:3], v[2:3] op_sel:[0,1]
	s_and_saveexec_b64 s[22:23], vcc
	s_cbranch_execz .LBB46_22
; %bb.21:                               ;   in Loop: Header=BB46_6 Depth=1
	global_load_dwordx4 v[0:3], v[34:35], off offset:-8
.LBB46_22:                              ;   in Loop: Header=BB46_6 Depth=1
	s_or_b64 exec, exec, s[22:23]
.LBB46_23:                              ;   in Loop: Header=BB46_6 Depth=1
	s_or_b64 exec, exec, s[8:9]
	s_and_b64 vcc, exec, s[42:43]
	s_cbranch_vccnz .LBB46_13
.LBB46_24:                              ;   in Loop: Header=BB46_6 Depth=1
                                        ; implicit-def: $vgpr6_vgpr7
.LBB46_25:                              ;   in Loop: Header=BB46_6 Depth=1
	s_waitcnt vmcnt(0)
	v_pk_mov_b32 v[4:5], 0, 0
	v_pk_mov_b32 v[6:7], v[4:5], v[4:5] op_sel:[0,1]
	s_and_saveexec_b64 s[8:9], s[0:1]
	s_cbranch_execz .LBB46_4
; %bb.26:                               ;   in Loop: Header=BB46_6 Depth=1
	v_mov_b32_e32 v5, s29
	v_add_co_u32_e32 v4, vcc, s28, v10
	v_addc_co_u32_e32 v5, vcc, 0, v5, vcc
	v_pk_mov_b32 v[6:7], 0, 0
	v_cmp_gt_i64_e32 vcc, s[40:41], v[4:5]
	v_pk_mov_b32 v[4:5], v[6:7], v[6:7] op_sel:[0,1]
	s_and_saveexec_b64 s[22:23], vcc
	s_cbranch_execz .LBB46_3
; %bb.27:                               ;   in Loop: Header=BB46_6 Depth=1
	global_load_dwordx4 v[4:7], v[44:45], off offset:-8
	s_branch .LBB46_3
.LBB46_28:
	s_load_dwordx4 s[4:7], s[4:5], 0x90
	s_lshl_b64 s[0:1], s[30:31], 4
	s_waitcnt lgkmcnt(0)
	s_add_u32 s2, s26, s0
	s_addc_u32 s3, s27, s1
	v_mul_lo_u32 v2, v15, s6
	v_mul_lo_u32 v3, v14, s7
	v_mad_u64_u32 v[0:1], s[0:1], v14, s6, 0
	v_add3_u32 v1, v1, v3, v2
	v_mul_lo_u32 v4, v13, s4
	v_mul_lo_u32 v5, v12, s5
	v_mad_u64_u32 v[2:3], s[0:1], v12, s4, 0
	v_lshlrev_b64 v[0:1], 4, v[0:1]
	v_add3_u32 v3, v3, v5, v4
	v_mov_b32_e32 v4, s3
	v_add_co_u32_e32 v5, vcc, s2, v0
	v_addc_co_u32_e32 v4, vcc, v4, v1, vcc
	v_lshlrev_b64 v[0:1], 4, v[2:3]
	v_add_co_u32_e32 v6, vcc, v5, v0
	v_lshl_or_b32 v0, v29, 4, v18
	v_addc_co_u32_e32 v7, vcc, v4, v1, vcc
	v_mbcnt_hi_u32_b32 v1, -1, v46
	v_and_b32_e32 v0, 63, v0
	v_and_or_b32 v0, v1, 64, v0
	v_lshlrev_b32_e32 v12, 2, v0
	v_mad_u64_u32 v[0:1], s[0:1], v18, s6, 0
	v_mov_b32_e32 v2, v1
	v_mad_u64_u32 v[2:3], s[0:1], v18, s7, v[2:3]
	v_mov_b32_e32 v1, v2
	v_lshlrev_b64 v[4:5], 4, v[0:1]
	ds_bpermute_b32 v0, v12, v36
	ds_bpermute_b32 v1, v12, v37
	ds_bpermute_b32 v2, v12, v38
	ds_bpermute_b32 v3, v12, v39
	v_add_co_u32_e64 v6, s[0:1], v6, v4
	v_addc_co_u32_e64 v7, s[0:1], v7, v5, s[0:1]
	v_cmp_lt_u64_e32 vcc, v[18:19], v[16:17]
	v_cmp_lt_u64_e64 s[0:1], v[10:11], v[8:9]
	s_and_b64 s[0:1], vcc, s[0:1]
	s_and_saveexec_b64 s[2:3], s[0:1]
	s_cbranch_execz .LBB46_30
; %bb.29:
	v_mad_u64_u32 v[4:5], s[0:1], v10, s4, 0
	v_mov_b32_e32 v14, v5
	v_mad_u64_u32 v[14:15], s[0:1], v10, s5, v[14:15]
	v_mov_b32_e32 v5, v14
	v_lshlrev_b64 v[4:5], 4, v[4:5]
	v_add_co_u32_e64 v4, s[0:1], v6, v4
	v_addc_co_u32_e64 v5, s[0:1], v7, v5, s[0:1]
	global_load_dwordx4 v[14:17], v[4:5], off
	s_waitcnt lgkmcnt(0)
	v_mul_f64 v[18:19], s[54:55], v[2:3]
	v_mul_f64 v[2:3], s[52:53], v[2:3]
	v_fma_f64 v[18:19], s[52:53], v[0:1], -v[18:19]
	v_fmac_f64_e32 v[2:3], s[54:55], v[0:1]
	s_waitcnt vmcnt(0)
	v_mul_f64 v[0:1], s[38:39], v[16:17]
	v_mul_f64 v[16:17], s[36:37], v[16:17]
	v_fma_f64 v[0:1], s[36:37], v[14:15], -v[0:1]
	v_fmac_f64_e32 v[16:17], s[38:39], v[14:15]
	v_add_f64 v[0:1], v[18:19], v[0:1]
	v_add_f64 v[2:3], v[2:3], v[16:17]
	global_store_dwordx4 v[4:5], v[0:3], off
.LBB46_30:
	s_or_b64 exec, exec, s[2:3]
	s_waitcnt lgkmcnt(3)
	ds_bpermute_b32 v0, v12, v32
	s_waitcnt lgkmcnt(3)
	ds_bpermute_b32 v1, v12, v33
	;; [unrolled: 2-line block ×4, first 2 shown]
	v_or_b32_e32 v4, 4, v10
	v_mov_b32_e32 v5, v11
	v_cmp_lt_u64_e64 s[0:1], v[4:5], v[8:9]
	s_and_b64 s[0:1], vcc, s[0:1]
	s_and_saveexec_b64 s[2:3], s[0:1]
	s_cbranch_execz .LBB46_32
; %bb.31:
	v_mad_u64_u32 v[14:15], s[0:1], v4, s4, 0
	v_mov_b32_e32 v16, v15
	v_mad_u64_u32 v[4:5], s[0:1], v4, s5, v[16:17]
	v_mov_b32_e32 v15, v4
	v_lshlrev_b64 v[4:5], 4, v[14:15]
	v_add_co_u32_e64 v4, s[0:1], v6, v4
	v_addc_co_u32_e64 v5, s[0:1], v7, v5, s[0:1]
	global_load_dwordx4 v[14:17], v[4:5], off
	s_waitcnt lgkmcnt(0)
	v_mul_f64 v[18:19], s[54:55], v[2:3]
	v_mul_f64 v[2:3], s[52:53], v[2:3]
	v_fma_f64 v[18:19], s[52:53], v[0:1], -v[18:19]
	v_fmac_f64_e32 v[2:3], s[54:55], v[0:1]
	s_waitcnt vmcnt(0)
	v_mul_f64 v[0:1], s[38:39], v[16:17]
	v_mul_f64 v[16:17], s[36:37], v[16:17]
	v_fma_f64 v[0:1], s[36:37], v[14:15], -v[0:1]
	v_fmac_f64_e32 v[16:17], s[38:39], v[14:15]
	v_add_f64 v[0:1], v[18:19], v[0:1]
	v_add_f64 v[2:3], v[2:3], v[16:17]
	global_store_dwordx4 v[4:5], v[0:3], off
.LBB46_32:
	s_or_b64 exec, exec, s[2:3]
	s_waitcnt lgkmcnt(3)
	ds_bpermute_b32 v0, v12, v26
	s_waitcnt lgkmcnt(3)
	ds_bpermute_b32 v1, v12, v27
	;; [unrolled: 2-line block ×4, first 2 shown]
	v_or_b32_e32 v4, 8, v10
	v_mov_b32_e32 v5, v11
	v_cmp_lt_u64_e64 s[0:1], v[4:5], v[8:9]
	s_and_b64 s[0:1], vcc, s[0:1]
	s_and_saveexec_b64 s[2:3], s[0:1]
	s_cbranch_execz .LBB46_34
; %bb.33:
	v_mad_u64_u32 v[14:15], s[0:1], v4, s4, 0
	v_mov_b32_e32 v16, v15
	v_mad_u64_u32 v[4:5], s[0:1], v4, s5, v[16:17]
	v_mov_b32_e32 v15, v4
	v_lshlrev_b64 v[4:5], 4, v[14:15]
	v_add_co_u32_e64 v4, s[0:1], v6, v4
	v_addc_co_u32_e64 v5, s[0:1], v7, v5, s[0:1]
	global_load_dwordx4 v[14:17], v[4:5], off
	s_waitcnt lgkmcnt(0)
	v_mul_f64 v[18:19], s[54:55], v[2:3]
	v_mul_f64 v[2:3], s[52:53], v[2:3]
	v_fma_f64 v[18:19], s[52:53], v[0:1], -v[18:19]
	v_fmac_f64_e32 v[2:3], s[54:55], v[0:1]
	s_waitcnt vmcnt(0)
	v_mul_f64 v[0:1], s[38:39], v[16:17]
	v_mul_f64 v[16:17], s[36:37], v[16:17]
	v_fma_f64 v[0:1], s[36:37], v[14:15], -v[0:1]
	v_fmac_f64_e32 v[16:17], s[38:39], v[14:15]
	v_add_f64 v[0:1], v[18:19], v[0:1]
	v_add_f64 v[2:3], v[2:3], v[16:17]
	global_store_dwordx4 v[4:5], v[0:3], off
.LBB46_34:
	s_or_b64 exec, exec, s[2:3]
	s_waitcnt lgkmcnt(3)
	ds_bpermute_b32 v0, v12, v22
	s_waitcnt lgkmcnt(3)
	ds_bpermute_b32 v1, v12, v23
	;; [unrolled: 2-line block ×4, first 2 shown]
	v_or_b32_e32 v10, 12, v10
	v_cmp_lt_u64_e64 s[0:1], v[10:11], v[8:9]
	s_and_b64 s[0:1], vcc, s[0:1]
	s_and_b64 exec, exec, s[0:1]
	s_cbranch_execz .LBB46_36
; %bb.35:
	v_mad_u64_u32 v[4:5], s[0:1], v10, s4, 0
	v_mov_b32_e32 v8, v5
	v_mad_u64_u32 v[8:9], s[0:1], v10, s5, v[8:9]
	v_mov_b32_e32 v5, v8
	v_lshlrev_b64 v[4:5], 4, v[4:5]
	v_add_co_u32_e32 v8, vcc, v6, v4
	v_addc_co_u32_e32 v9, vcc, v7, v5, vcc
	global_load_dwordx4 v[4:7], v[8:9], off
	s_waitcnt lgkmcnt(0)
	v_mul_f64 v[10:11], s[54:55], v[2:3]
	v_mul_f64 v[2:3], s[52:53], v[2:3]
	v_fma_f64 v[10:11], s[52:53], v[0:1], -v[10:11]
	v_fmac_f64_e32 v[2:3], s[54:55], v[0:1]
	s_waitcnt vmcnt(0)
	v_mul_f64 v[0:1], s[38:39], v[6:7]
	v_mul_f64 v[6:7], s[36:37], v[6:7]
	v_fma_f64 v[0:1], s[36:37], v[4:5], -v[0:1]
	v_fmac_f64_e32 v[6:7], s[38:39], v[4:5]
	v_add_f64 v[0:1], v[10:11], v[0:1]
	v_add_f64 v[2:3], v[2:3], v[6:7]
	global_store_dwordx4 v[8:9], v[0:3], off
.LBB46_36:
	s_endpgm
	.section	.rodata,"a",@progbits
	.p2align	6, 0x0
	.amdhsa_kernel _ZN9rocsolver6v33100L16mfma_gemm_kernelI19rocblas_complex_numIdElPKS3_PKPS3_S6_S8_EEv18rocblas_operation_S9_T0_SA_SA_T1_T2_lSA_SA_lT3_lSA_SA_lSB_T4_lSA_SA_l
		.amdhsa_group_segment_fixed_size 0
		.amdhsa_private_segment_fixed_size 0
		.amdhsa_kernarg_size 424
		.amdhsa_user_sgpr_count 6
		.amdhsa_user_sgpr_private_segment_buffer 1
		.amdhsa_user_sgpr_dispatch_ptr 0
		.amdhsa_user_sgpr_queue_ptr 0
		.amdhsa_user_sgpr_kernarg_segment_ptr 1
		.amdhsa_user_sgpr_dispatch_id 0
		.amdhsa_user_sgpr_flat_scratch_init 0
		.amdhsa_user_sgpr_kernarg_preload_length 0
		.amdhsa_user_sgpr_kernarg_preload_offset 0
		.amdhsa_user_sgpr_private_segment_size 0
		.amdhsa_uses_dynamic_stack 0
		.amdhsa_system_sgpr_private_segment_wavefront_offset 0
		.amdhsa_system_sgpr_workgroup_id_x 1
		.amdhsa_system_sgpr_workgroup_id_y 1
		.amdhsa_system_sgpr_workgroup_id_z 1
		.amdhsa_system_sgpr_workgroup_info 0
		.amdhsa_system_vgpr_workitem_id 1
		.amdhsa_next_free_vgpr 70
		.amdhsa_next_free_sgpr 58
		.amdhsa_accum_offset 72
		.amdhsa_reserve_vcc 1
		.amdhsa_reserve_flat_scratch 0
		.amdhsa_float_round_mode_32 0
		.amdhsa_float_round_mode_16_64 0
		.amdhsa_float_denorm_mode_32 3
		.amdhsa_float_denorm_mode_16_64 3
		.amdhsa_dx10_clamp 1
		.amdhsa_ieee_mode 1
		.amdhsa_fp16_overflow 0
		.amdhsa_tg_split 0
		.amdhsa_exception_fp_ieee_invalid_op 0
		.amdhsa_exception_fp_denorm_src 0
		.amdhsa_exception_fp_ieee_div_zero 0
		.amdhsa_exception_fp_ieee_overflow 0
		.amdhsa_exception_fp_ieee_underflow 0
		.amdhsa_exception_fp_ieee_inexact 0
		.amdhsa_exception_int_div_zero 0
	.end_amdhsa_kernel
	.section	.text._ZN9rocsolver6v33100L16mfma_gemm_kernelI19rocblas_complex_numIdElPKS3_PKPS3_S6_S8_EEv18rocblas_operation_S9_T0_SA_SA_T1_T2_lSA_SA_lT3_lSA_SA_lSB_T4_lSA_SA_l,"axG",@progbits,_ZN9rocsolver6v33100L16mfma_gemm_kernelI19rocblas_complex_numIdElPKS3_PKPS3_S6_S8_EEv18rocblas_operation_S9_T0_SA_SA_T1_T2_lSA_SA_lT3_lSA_SA_lSB_T4_lSA_SA_l,comdat
.Lfunc_end46:
	.size	_ZN9rocsolver6v33100L16mfma_gemm_kernelI19rocblas_complex_numIdElPKS3_PKPS3_S6_S8_EEv18rocblas_operation_S9_T0_SA_SA_T1_T2_lSA_SA_lT3_lSA_SA_lSB_T4_lSA_SA_l, .Lfunc_end46-_ZN9rocsolver6v33100L16mfma_gemm_kernelI19rocblas_complex_numIdElPKS3_PKPS3_S6_S8_EEv18rocblas_operation_S9_T0_SA_SA_T1_T2_lSA_SA_lT3_lSA_SA_lSB_T4_lSA_SA_l
                                        ; -- End function
	.section	.AMDGPU.csdata,"",@progbits
; Kernel info:
; codeLenInByte = 2996
; NumSgprs: 62
; NumVgprs: 70
; NumAgprs: 0
; TotalNumVgprs: 70
; ScratchSize: 0
; MemoryBound: 1
; FloatMode: 240
; IeeeMode: 1
; LDSByteSize: 0 bytes/workgroup (compile time only)
; SGPRBlocks: 7
; VGPRBlocks: 8
; NumSGPRsForWavesPerEU: 62
; NumVGPRsForWavesPerEU: 70
; AccumOffset: 72
; Occupancy: 7
; WaveLimiterHint : 1
; COMPUTE_PGM_RSRC2:SCRATCH_EN: 0
; COMPUTE_PGM_RSRC2:USER_SGPR: 6
; COMPUTE_PGM_RSRC2:TRAP_HANDLER: 0
; COMPUTE_PGM_RSRC2:TGID_X_EN: 1
; COMPUTE_PGM_RSRC2:TGID_Y_EN: 1
; COMPUTE_PGM_RSRC2:TGID_Z_EN: 1
; COMPUTE_PGM_RSRC2:TIDIG_COMP_CNT: 1
; COMPUTE_PGM_RSRC3_GFX90A:ACCUM_OFFSET: 17
; COMPUTE_PGM_RSRC3_GFX90A:TG_SPLIT: 0
	.section	.text._ZN9rocsolver6v33100L16mfma_gemm_kernelI19rocblas_complex_numIdElS3_PKPS3_S4_S6_EEv18rocblas_operation_S7_T0_S8_S8_T1_T2_lS8_S8_lT3_lS8_S8_lS9_T4_lS8_S8_l,"axG",@progbits,_ZN9rocsolver6v33100L16mfma_gemm_kernelI19rocblas_complex_numIdElS3_PKPS3_S4_S6_EEv18rocblas_operation_S7_T0_S8_S8_T1_T2_lS8_S8_lT3_lS8_S8_lS9_T4_lS8_S8_l,comdat
	.globl	_ZN9rocsolver6v33100L16mfma_gemm_kernelI19rocblas_complex_numIdElS3_PKPS3_S4_S6_EEv18rocblas_operation_S7_T0_S8_S8_T1_T2_lS8_S8_lT3_lS8_S8_lS9_T4_lS8_S8_l ; -- Begin function _ZN9rocsolver6v33100L16mfma_gemm_kernelI19rocblas_complex_numIdElS3_PKPS3_S4_S6_EEv18rocblas_operation_S7_T0_S8_S8_T1_T2_lS8_S8_lT3_lS8_S8_lS9_T4_lS8_S8_l
	.p2align	8
	.type	_ZN9rocsolver6v33100L16mfma_gemm_kernelI19rocblas_complex_numIdElS3_PKPS3_S4_S6_EEv18rocblas_operation_S7_T0_S8_S8_T1_T2_lS8_S8_lT3_lS8_S8_lS9_T4_lS8_S8_l,@function
_ZN9rocsolver6v33100L16mfma_gemm_kernelI19rocblas_complex_numIdElS3_PKPS3_S4_S6_EEv18rocblas_operation_S7_T0_S8_S8_T1_T2_lS8_S8_lT3_lS8_S8_lS9_T4_lS8_S8_l: ; @_ZN9rocsolver6v33100L16mfma_gemm_kernelI19rocblas_complex_numIdElS3_PKPS3_S4_S6_EEv18rocblas_operation_S7_T0_S8_S8_T1_T2_lS8_S8_lT3_lS8_S8_lS9_T4_lS8_S8_l
; %bb.0:
	s_load_dword s0, s[4:5], 0xc4
	s_load_dwordx16 s[12:27], s[4:5], 0x8
	v_and_b32_e32 v4, 0x3ff, v0
	v_mov_b32_e32 v9, 0
	v_lshrrev_b32_e32 v8, 6, v4
	s_waitcnt lgkmcnt(0)
	s_lshr_b32 s2, s0, 16
	s_bfe_u32 s0, s0, 0xa0006
	v_bfe_u32 v0, v0, 10, 10
	v_mov_b32_e32 v1, v9
	v_mov_b32_e32 v2, s6
	;; [unrolled: 1-line block ×3, first 2 shown]
	v_mad_u64_u32 v[2:3], s[0:1], s0, v2, v[8:9]
	v_mad_u64_u32 v[0:1], s[0:1], s2, v5, v[0:1]
	v_lshlrev_b64 v[12:13], 4, v[2:3]
	v_lshlrev_b64 v[16:17], 4, v[0:1]
	v_cmp_gt_i64_e32 vcc, s[12:13], v[12:13]
	v_cmp_gt_i64_e64 s[0:1], s[14:15], v[16:17]
	s_and_b64 s[0:1], vcc, s[0:1]
	s_and_saveexec_b64 s[2:3], s[0:1]
	s_cbranch_execz .LBB47_36
; %bb.1:
	s_load_dwordx16 s[36:51], s[4:5], 0x58
	v_add_co_u32_e32 v6, vcc, 16, v12
	v_addc_co_u32_e32 v7, vcc, 0, v13, vcc
	s_and_b32 s0, s12, 15
	s_mov_b32 s9, 0
	v_mov_b32_e32 v5, s0
	v_cmp_lt_u64_e32 vcc, s[12:13], v[6:7]
	s_and_b32 s0, s14, 15
	s_lshl_b64 s[2:3], s[8:9], 3
	v_cndmask_b32_e32 v8, 16, v5, vcc
	v_mov_b32_e32 v5, s0
	s_waitcnt lgkmcnt(0)
	s_add_u32 s0, s50, s2
	s_addc_u32 s1, s51, s3
	v_add_co_u32_e32 v6, vcc, 16, v16
	s_load_dwordx2 s[28:29], s[0:1], 0x0
	v_addc_co_u32_e32 v7, vcc, 0, v17, vcc
	v_cmp_lt_u64_e32 vcc, s[14:15], v[6:7]
	v_cndmask_b32_e32 v14, 16, v5, vcc
	v_mov_b32_e32 v15, v9
	v_bfe_u32 v18, v4, 2, 4
	v_mov_b32_e32 v19, v9
	v_cmp_lt_i64_e64 s[0:1], s[16:17], 1
	v_pk_mov_b32 v[36:37], 0, 0
	v_and_b32_e32 v46, 63, v4
	v_and_b32_e32 v10, 3, v4
	v_mov_b32_e32 v11, v9
	s_mov_b64 s[30:31], 0
	s_and_b64 vcc, exec, s[0:1]
	v_cmp_lt_u64_e64 s[0:1], v[18:19], v[14:15]
	v_mbcnt_lo_u32_b32 v29, -1, 0
	v_pk_mov_b32 v[38:39], v[36:37], v[36:37] op_sel:[0,1]
	v_pk_mov_b32 v[20:21], v[36:37], v[36:37] op_sel:[0,1]
	;; [unrolled: 1-line block ×7, first 2 shown]
	s_cbranch_vccnz .LBB47_28
; %bb.2:
	s_load_dwordx2 s[12:13], s[4:5], 0x0
	s_load_dwordx2 s[52:53], s[4:5], 0x48
	v_mov_b32_e32 v5, 0
	v_and_b32_e32 v4, 15, v46
	v_lshrrev_b32_e32 v28, 4, v46
	s_waitcnt lgkmcnt(0)
	s_cmpk_lg_i32 s12, 0x6f
	s_cselect_b64 s[34:35], -1, 0
	s_cmpk_lg_i32 s13, 0x6f
	s_cselect_b64 s[50:51], -1, 0
	s_cmpk_eq_i32 s13, 0x6f
	s_cselect_b32 s9, s42, s40
	s_cselect_b32 s33, s43, s41
	s_add_u32 s2, s22, s2
	s_addc_u32 s3, s23, s3
	s_cmpk_eq_i32 s12, 0x6f
	s_cselect_b32 s54, s26, s52
	s_cselect_b32 s55, s27, s53
	v_cmp_lt_u64_e64 s[6:7], v[4:5], v[8:9]
	v_cmp_lt_u64_e64 s[14:15], v[4:5], v[14:15]
	v_mul_lo_u32 v5, s55, v2
	v_mul_lo_u32 v6, s54, v3
	v_mad_u64_u32 v[2:3], s[54:55], s54, v2, 0
	v_add3_u32 v3, v3, v6, v5
	v_mad_u64_u32 v[6:7], s[54:55], s52, v28, 0
	v_mov_b32_e32 v20, v7
	v_mad_u64_u32 v[20:21], s[54:55], s53, v28, v[20:21]
	v_mov_b32_e32 v7, v20
	v_lshlrev_b64 v[2:3], 8, v[2:3]
	v_lshlrev_b64 v[6:7], 4, v[6:7]
	v_add_co_u32_e32 v5, vcc, v2, v6
	s_load_dwordx2 s[22:23], s[2:3], 0x0
	v_addc_co_u32_e32 v23, vcc, v3, v7, vcc
	v_mad_u64_u32 v[6:7], s[54:55], s26, v4, 0
	v_mov_b32_e32 v20, v7
	s_cmpk_eq_i32 s12, 0x71
	v_mad_u64_u32 v[20:21], s[54:55], s27, v4, v[20:21]
	s_cselect_b64 s[10:11], -1, 0
	s_cmpk_eq_i32 s13, 0x71
	v_mov_b32_e32 v7, v20
	s_cselect_b64 s[12:13], -1, 0
	v_lshlrev_b64 v[6:7], 4, v[6:7]
	s_lshl_b64 s[24:25], s[24:25], 4
	v_add_co_u32_e32 v5, vcc, v5, v6
	s_waitcnt lgkmcnt(0)
	s_add_u32 s54, s22, s24
	v_addc_co_u32_e32 v6, vcc, v23, v7, vcc
	s_addc_u32 s55, s23, s25
	v_mov_b32_e32 v7, s55
	v_add_co_u32_e32 v5, vcc, s54, v5
	v_addc_co_u32_e32 v6, vcc, v7, v6, vcc
	v_add_co_u32_e32 v34, vcc, 8, v5
	v_addc_co_u32_e32 v35, vcc, 0, v6, vcc
	v_mul_lo_u32 v5, s33, v0
	v_mul_lo_u32 v6, s9, v1
	v_mad_u64_u32 v[0:1], s[24:25], s9, v0, 0
	v_add3_u32 v1, v1, v6, v5
	v_mad_u64_u32 v[6:7], s[24:25], s42, v28, 0
	v_mov_b32_e32 v20, v7
	v_mad_u64_u32 v[20:21], s[24:25], s43, v28, v[20:21]
	v_mov_b32_e32 v7, v20
	v_lshlrev_b64 v[0:1], 8, v[0:1]
	v_lshlrev_b64 v[6:7], 4, v[6:7]
	s_mul_i32 s9, s45, s8
	s_mul_hi_u32 s24, s44, s8
	v_add_co_u32_e32 v5, vcc, v0, v6
	s_add_i32 s9, s24, s9
	s_mul_i32 s8, s44, s8
	v_addc_co_u32_e32 v6, vcc, v1, v7, vcc
	s_lshl_b64 s[8:9], s[8:9], 4
	v_mov_b32_e32 v21, s9
	v_add_co_u32_e32 v23, vcc, s8, v5
	v_addc_co_u32_e32 v24, vcc, v6, v21, vcc
	v_mad_u64_u32 v[6:7], s[24:25], s40, v4, 0
	v_mov_b32_e32 v20, v7
	v_lshl_or_b32 v22, v4, 2, v28
	v_mad_u64_u32 v[4:5], s[24:25], s41, v4, v[20:21]
	v_mov_b32_e32 v7, v4
	s_lshl_b64 s[22:23], s[52:53], 6
	v_lshlrev_b64 v[4:5], 4, v[6:7]
	s_lshl_b64 s[24:25], s[38:39], 4
	v_add_co_u32_e32 v4, vcc, v23, v4
	s_add_u32 s33, s36, s24
	v_addc_co_u32_e32 v5, vcc, v24, v5, vcc
	s_addc_u32 s38, s37, s25
	v_mov_b32_e32 v6, s38
	v_add_co_u32_e32 v4, vcc, s33, v4
	v_addc_co_u32_e32 v5, vcc, v6, v5, vcc
	v_add_co_u32_e32 v40, vcc, 8, v4
	v_addc_co_u32_e32 v41, vcc, 0, v5, vcc
	v_mad_u64_u32 v[4:5], s[36:37], s52, v18, 0
	v_mov_b32_e32 v6, v5
	v_mad_u64_u32 v[6:7], s[36:37], s53, v18, v[6:7]
	v_mov_b32_e32 v5, v6
	v_lshlrev_b64 v[4:5], 4, v[4:5]
	v_add_co_u32_e32 v6, vcc, v2, v4
	v_addc_co_u32_e32 v7, vcc, v3, v5, vcc
	v_mad_u64_u32 v[2:3], s[36:37], s26, v10, 0
	v_mov_b32_e32 v4, v3
	v_mad_u64_u32 v[4:5], s[36:37], s27, v10, v[4:5]
	v_mov_b32_e32 v3, v4
	v_lshlrev_b64 v[2:3], 4, v[2:3]
	v_add_co_u32_e32 v2, vcc, v6, v2
	v_addc_co_u32_e32 v3, vcc, v7, v3, vcc
	v_mov_b32_e32 v4, s55
	v_add_co_u32_e32 v2, vcc, s54, v2
	v_addc_co_u32_e32 v3, vcc, v4, v3, vcc
	v_add_co_u32_e32 v42, vcc, 8, v2
	v_addc_co_u32_e32 v43, vcc, 0, v3, vcc
	v_mad_u64_u32 v[2:3], s[36:37], s42, v18, 0
	v_mov_b32_e32 v4, v3
	v_mad_u64_u32 v[4:5], s[36:37], s43, v18, v[4:5]
	v_mov_b32_e32 v3, v4
	v_lshlrev_b64 v[2:3], 4, v[2:3]
	v_add_co_u32_e32 v0, vcc, v0, v2
	v_addc_co_u32_e32 v1, vcc, v1, v3, vcc
	v_add_co_u32_e32 v4, vcc, s8, v0
	v_addc_co_u32_e32 v5, vcc, v1, v21, vcc
	v_mad_u64_u32 v[0:1], s[8:9], s40, v10, 0
	v_mov_b32_e32 v2, v1
	v_mad_u64_u32 v[2:3], s[8:9], s41, v10, v[2:3]
	v_mov_b32_e32 v1, v2
	v_lshlrev_b64 v[0:1], 4, v[0:1]
	v_add_co_u32_e32 v0, vcc, v4, v0
	v_addc_co_u32_e32 v1, vcc, v5, v1, vcc
	v_mov_b32_e32 v2, s38
	v_add_co_u32_e32 v0, vcc, s33, v0
	v_addc_co_u32_e32 v1, vcc, v2, v1, vcc
	v_add_co_u32_e32 v44, vcc, 8, v0
	v_mbcnt_hi_u32_b32 v0, -1, v29
	v_pk_mov_b32 v[20:21], 0, 0
	v_and_or_b32 v0, v0, 64, v22
	v_cmp_lt_u64_e64 s[2:3], v[18:19], v[8:9]
	s_lshl_b64 s[24:25], s[42:43], 6
	s_lshl_b64 s[26:27], s[26:27], 6
	v_addc_co_u32_e32 v45, vcc, 0, v1, vcc
	s_lshl_b64 s[36:37], s[40:41], 6
	v_lshlrev_b32_e32 v47, 2, v0
	v_pk_mov_b32 v[24:25], v[20:21], v[20:21] op_sel:[0,1]
	v_pk_mov_b32 v[30:31], v[20:21], v[20:21] op_sel:[0,1]
	;; [unrolled: 1-line block ×7, first 2 shown]
	s_branch .LBB47_6
.LBB47_3:                               ;   in Loop: Header=BB47_6 Depth=1
	s_or_b64 exec, exec, s[38:39]
.LBB47_4:                               ;   in Loop: Header=BB47_6 Depth=1
	s_or_b64 exec, exec, s[8:9]
	s_waitcnt vmcnt(0)
	ds_bpermute_b32 v4, v47, v4
	ds_bpermute_b32 v5, v47, v5
	;; [unrolled: 1-line block ×4, first 2 shown]
.LBB47_5:                               ;   in Loop: Header=BB47_6 Depth=1
	s_waitcnt vmcnt(0) lgkmcnt(0)
	v_xor_b32_e32 v48, 0x80000000, v3
	v_cndmask_b32_e64 v3, v3, v48, s[10:11]
	v_cndmask_b32_e64 v2, v2, v2, s[10:11]
	v_xor_b32_e32 v48, 0x80000000, v7
	v_cndmask_b32_e64 v7, v7, v48, s[12:13]
	v_cndmask_b32_e64 v6, v6, v6, s[12:13]
	v_mfma_f64_16x16x4f64 v[48:55], v[0:1], v[4:5], 0
	s_add_u32 s30, s30, 4
	s_addc_u32 s31, s31, 0
	v_add_co_u32_e64 v34, s[8:9], s22, v34
	v_mfma_f64_16x16x4f64 v[56:63], v[2:3], v[6:7], 0
	s_nop 7
	s_nop 2
	v_add_f64 v[54:55], v[54:55], -v[62:63]
	v_pk_mov_b32 v[62:63], s[16:17], s[16:17] op_sel:[0,1]
	v_cmp_ge_i64_e32 vcc, s[30:31], v[62:63]
	v_mfma_f64_16x16x4f64 v[62:69], v[0:1], v[6:7], 0
	s_and_b64 vcc, exec, vcc
	v_add_f64 v[52:53], v[52:53], -v[60:61]
	v_add_f64 v[50:51], v[50:51], -v[58:59]
	;; [unrolled: 1-line block ×3, first 2 shown]
	v_add_f64 v[36:37], v[36:37], v[48:49]
	v_add_f64 v[32:33], v[32:33], v[50:51]
	;; [unrolled: 1-line block ×4, first 2 shown]
	v_mfma_f64_16x16x4f64 v[0:7], v[2:3], v[4:5], 0
	s_nop 7
	s_nop 2
	v_add_f64 v[0:1], v[62:63], v[0:1]
	v_add_f64 v[38:39], v[38:39], v[0:1]
	v_mov_b32_e32 v0, s23
	v_addc_co_u32_e64 v35, s[8:9], v35, v0, s[8:9]
	v_mov_b32_e32 v0, s25
	v_add_co_u32_e64 v40, s[8:9], s24, v40
	v_addc_co_u32_e64 v41, s[8:9], v41, v0, s[8:9]
	v_mov_b32_e32 v0, s27
	v_add_co_u32_e64 v42, s[8:9], s26, v42
	v_addc_co_u32_e64 v43, s[8:9], v43, v0, s[8:9]
	v_add_f64 v[6:7], v[68:69], v[6:7]
	v_add_f64 v[4:5], v[66:67], v[4:5]
	;; [unrolled: 1-line block ×3, first 2 shown]
	v_mov_b32_e32 v0, s37
	v_add_co_u32_e64 v44, s[8:9], s36, v44
	v_add_f64 v[30:31], v[30:31], v[2:3]
	v_add_f64 v[24:25], v[24:25], v[4:5]
	;; [unrolled: 1-line block ×3, first 2 shown]
	v_addc_co_u32_e64 v45, s[8:9], v45, v0, s[8:9]
	s_cbranch_vccnz .LBB47_28
.LBB47_6:                               ; =>This Inner Loop Header: Depth=1
	s_and_b64 vcc, exec, s[34:35]
	s_cbranch_vccz .LBB47_18
; %bb.7:                                ;   in Loop: Header=BB47_6 Depth=1
	v_pk_mov_b32 v[0:1], 0, 0
	s_mov_b64 s[8:9], 0
	v_pk_mov_b32 v[2:3], v[0:1], v[0:1] op_sel:[0,1]
	s_and_saveexec_b64 s[38:39], s[2:3]
	s_cbranch_execz .LBB47_11
; %bb.8:                                ;   in Loop: Header=BB47_6 Depth=1
	v_mov_b32_e32 v1, s31
	v_add_co_u32_e32 v0, vcc, s30, v10
	v_addc_co_u32_e32 v1, vcc, 0, v1, vcc
	v_pk_mov_b32 v[2:3], 0, 0
	v_cmp_gt_i64_e32 vcc, s[16:17], v[0:1]
	v_pk_mov_b32 v[0:1], v[2:3], v[2:3] op_sel:[0,1]
	s_and_saveexec_b64 s[40:41], vcc
	s_cbranch_execz .LBB47_10
; %bb.9:                                ;   in Loop: Header=BB47_6 Depth=1
	global_load_dwordx4 v[0:3], v[42:43], off offset:-8
.LBB47_10:                              ;   in Loop: Header=BB47_6 Depth=1
	s_or_b64 exec, exec, s[40:41]
.LBB47_11:                              ;   in Loop: Header=BB47_6 Depth=1
	s_or_b64 exec, exec, s[38:39]
	s_waitcnt vmcnt(0)
	ds_bpermute_b32 v0, v47, v0
	ds_bpermute_b32 v1, v47, v1
	;; [unrolled: 1-line block ×4, first 2 shown]
	s_and_b64 vcc, exec, s[8:9]
	s_cbranch_vccnz .LBB47_19
.LBB47_12:                              ;   in Loop: Header=BB47_6 Depth=1
	s_and_b64 vcc, exec, s[50:51]
	s_cbranch_vccz .LBB47_24
.LBB47_13:                              ;   in Loop: Header=BB47_6 Depth=1
	v_pk_mov_b32 v[6:7], 0, 0
	s_mov_b64 s[8:9], 0
	v_pk_mov_b32 v[4:5], v[6:7], v[6:7] op_sel:[0,1]
	s_and_saveexec_b64 s[38:39], s[14:15]
	s_cbranch_execz .LBB47_17
; %bb.14:                               ;   in Loop: Header=BB47_6 Depth=1
	v_mov_b32_e32 v5, s31
	v_add_co_u32_e32 v4, vcc, s30, v28
	v_addc_co_u32_e32 v5, vcc, 0, v5, vcc
	v_pk_mov_b32 v[6:7], 0, 0
	v_cmp_gt_i64_e32 vcc, s[16:17], v[4:5]
	v_pk_mov_b32 v[4:5], v[6:7], v[6:7] op_sel:[0,1]
	s_and_saveexec_b64 s[40:41], vcc
	s_cbranch_execz .LBB47_16
; %bb.15:                               ;   in Loop: Header=BB47_6 Depth=1
	global_load_dwordx4 v[4:7], v[40:41], off offset:-8
.LBB47_16:                              ;   in Loop: Header=BB47_6 Depth=1
	s_or_b64 exec, exec, s[40:41]
.LBB47_17:                              ;   in Loop: Header=BB47_6 Depth=1
	s_or_b64 exec, exec, s[38:39]
	s_andn2_b64 vcc, exec, s[8:9]
	s_cbranch_vccnz .LBB47_5
	s_branch .LBB47_25
.LBB47_18:                              ;   in Loop: Header=BB47_6 Depth=1
                                        ; implicit-def: $vgpr2_vgpr3
	s_cbranch_execz .LBB47_12
.LBB47_19:                              ;   in Loop: Header=BB47_6 Depth=1
	s_waitcnt lgkmcnt(0)
	v_pk_mov_b32 v[2:3], 0, 0
	v_pk_mov_b32 v[0:1], v[2:3], v[2:3] op_sel:[0,1]
	s_and_saveexec_b64 s[8:9], s[6:7]
	s_cbranch_execz .LBB47_23
; %bb.20:                               ;   in Loop: Header=BB47_6 Depth=1
	v_mov_b32_e32 v1, s31
	v_add_co_u32_e32 v0, vcc, s30, v28
	v_addc_co_u32_e32 v1, vcc, 0, v1, vcc
	v_pk_mov_b32 v[2:3], 0, 0
	v_cmp_gt_i64_e32 vcc, s[16:17], v[0:1]
	v_pk_mov_b32 v[0:1], v[2:3], v[2:3] op_sel:[0,1]
	s_and_saveexec_b64 s[38:39], vcc
	s_cbranch_execz .LBB47_22
; %bb.21:                               ;   in Loop: Header=BB47_6 Depth=1
	global_load_dwordx4 v[0:3], v[34:35], off offset:-8
.LBB47_22:                              ;   in Loop: Header=BB47_6 Depth=1
	s_or_b64 exec, exec, s[38:39]
.LBB47_23:                              ;   in Loop: Header=BB47_6 Depth=1
	s_or_b64 exec, exec, s[8:9]
	s_and_b64 vcc, exec, s[50:51]
	s_cbranch_vccnz .LBB47_13
.LBB47_24:                              ;   in Loop: Header=BB47_6 Depth=1
                                        ; implicit-def: $vgpr6_vgpr7
.LBB47_25:                              ;   in Loop: Header=BB47_6 Depth=1
	s_waitcnt vmcnt(0)
	v_pk_mov_b32 v[4:5], 0, 0
	v_pk_mov_b32 v[6:7], v[4:5], v[4:5] op_sel:[0,1]
	s_and_saveexec_b64 s[8:9], s[0:1]
	s_cbranch_execz .LBB47_4
; %bb.26:                               ;   in Loop: Header=BB47_6 Depth=1
	v_mov_b32_e32 v5, s31
	v_add_co_u32_e32 v4, vcc, s30, v10
	v_addc_co_u32_e32 v5, vcc, 0, v5, vcc
	v_pk_mov_b32 v[6:7], 0, 0
	v_cmp_gt_i64_e32 vcc, s[16:17], v[4:5]
	v_pk_mov_b32 v[4:5], v[6:7], v[6:7] op_sel:[0,1]
	s_and_saveexec_b64 s[38:39], vcc
	s_cbranch_execz .LBB47_3
; %bb.27:                               ;   in Loop: Header=BB47_6 Depth=1
	global_load_dwordx4 v[4:7], v[44:45], off offset:-8
	s_branch .LBB47_3
.LBB47_28:
	s_load_dwordx4 s[0:3], s[4:5], 0x98
	s_load_dwordx2 s[6:7], s[4:5], 0xa8
	s_waitcnt lgkmcnt(0)
	s_lshl_b64 s[0:1], s[0:1], 4
	s_add_u32 s4, s28, s0
	v_mul_lo_u32 v2, v17, s6
	v_mul_lo_u32 v3, v16, s7
	s_addc_u32 s5, s29, s1
	v_mad_u64_u32 v[0:1], s[0:1], v16, s6, 0
	v_add3_u32 v1, v1, v3, v2
	v_mul_lo_u32 v4, v13, s2
	v_mul_lo_u32 v5, v12, s3
	v_mad_u64_u32 v[2:3], s[0:1], v12, s2, 0
	v_lshlrev_b64 v[0:1], 4, v[0:1]
	v_add3_u32 v3, v3, v5, v4
	v_mov_b32_e32 v4, s5
	v_add_co_u32_e32 v5, vcc, s4, v0
	v_addc_co_u32_e32 v4, vcc, v4, v1, vcc
	v_lshlrev_b64 v[0:1], 4, v[2:3]
	v_add_co_u32_e32 v6, vcc, v5, v0
	v_lshl_or_b32 v0, v46, 4, v18
	v_addc_co_u32_e32 v7, vcc, v4, v1, vcc
	v_mbcnt_hi_u32_b32 v1, -1, v29
	v_and_b32_e32 v0, 63, v0
	v_and_or_b32 v0, v1, 64, v0
	v_lshlrev_b32_e32 v12, 2, v0
	v_mad_u64_u32 v[0:1], s[0:1], v18, s6, 0
	v_mov_b32_e32 v2, v1
	v_mad_u64_u32 v[2:3], s[0:1], v18, s7, v[2:3]
	v_mov_b32_e32 v1, v2
	v_lshlrev_b64 v[4:5], 4, v[0:1]
	ds_bpermute_b32 v0, v12, v36
	ds_bpermute_b32 v1, v12, v37
	;; [unrolled: 1-line block ×4, first 2 shown]
	v_add_co_u32_e64 v6, s[0:1], v6, v4
	v_addc_co_u32_e64 v7, s[0:1], v7, v5, s[0:1]
	v_cmp_lt_u64_e32 vcc, v[18:19], v[14:15]
	v_cmp_lt_u64_e64 s[0:1], v[10:11], v[8:9]
	s_and_b64 s[0:1], vcc, s[0:1]
	s_and_saveexec_b64 s[4:5], s[0:1]
	s_cbranch_execz .LBB47_30
; %bb.29:
	v_mad_u64_u32 v[4:5], s[0:1], v10, s2, 0
	v_mov_b32_e32 v14, v5
	v_mad_u64_u32 v[14:15], s[0:1], v10, s3, v[14:15]
	v_mov_b32_e32 v5, v14
	v_lshlrev_b64 v[4:5], 4, v[4:5]
	v_add_co_u32_e64 v4, s[0:1], v6, v4
	v_addc_co_u32_e64 v5, s[0:1], v7, v5, s[0:1]
	global_load_dwordx4 v[14:17], v[4:5], off
	s_waitcnt lgkmcnt(0)
	v_mul_f64 v[18:19], s[20:21], v[2:3]
	v_mul_f64 v[2:3], s[18:19], v[2:3]
	v_fma_f64 v[18:19], s[18:19], v[0:1], -v[18:19]
	v_fmac_f64_e32 v[2:3], s[20:21], v[0:1]
	s_waitcnt vmcnt(0)
	v_mul_f64 v[0:1], s[48:49], v[16:17]
	v_mul_f64 v[16:17], s[46:47], v[16:17]
	v_fma_f64 v[0:1], s[46:47], v[14:15], -v[0:1]
	v_fmac_f64_e32 v[16:17], s[48:49], v[14:15]
	v_add_f64 v[0:1], v[18:19], v[0:1]
	v_add_f64 v[2:3], v[2:3], v[16:17]
	global_store_dwordx4 v[4:5], v[0:3], off
.LBB47_30:
	s_or_b64 exec, exec, s[4:5]
	s_waitcnt lgkmcnt(3)
	ds_bpermute_b32 v0, v12, v32
	s_waitcnt lgkmcnt(3)
	ds_bpermute_b32 v1, v12, v33
	;; [unrolled: 2-line block ×4, first 2 shown]
	v_or_b32_e32 v4, 4, v10
	v_mov_b32_e32 v5, v11
	v_cmp_lt_u64_e64 s[0:1], v[4:5], v[8:9]
	s_and_b64 s[0:1], vcc, s[0:1]
	s_and_saveexec_b64 s[4:5], s[0:1]
	s_cbranch_execz .LBB47_32
; %bb.31:
	v_mad_u64_u32 v[14:15], s[0:1], v4, s2, 0
	v_mov_b32_e32 v16, v15
	v_mad_u64_u32 v[4:5], s[0:1], v4, s3, v[16:17]
	v_mov_b32_e32 v15, v4
	v_lshlrev_b64 v[4:5], 4, v[14:15]
	v_add_co_u32_e64 v4, s[0:1], v6, v4
	v_addc_co_u32_e64 v5, s[0:1], v7, v5, s[0:1]
	global_load_dwordx4 v[14:17], v[4:5], off
	s_waitcnt lgkmcnt(0)
	v_mul_f64 v[18:19], s[20:21], v[2:3]
	v_mul_f64 v[2:3], s[18:19], v[2:3]
	v_fma_f64 v[18:19], s[18:19], v[0:1], -v[18:19]
	v_fmac_f64_e32 v[2:3], s[20:21], v[0:1]
	s_waitcnt vmcnt(0)
	v_mul_f64 v[0:1], s[48:49], v[16:17]
	v_mul_f64 v[16:17], s[46:47], v[16:17]
	v_fma_f64 v[0:1], s[46:47], v[14:15], -v[0:1]
	v_fmac_f64_e32 v[16:17], s[48:49], v[14:15]
	v_add_f64 v[0:1], v[18:19], v[0:1]
	v_add_f64 v[2:3], v[2:3], v[16:17]
	global_store_dwordx4 v[4:5], v[0:3], off
.LBB47_32:
	s_or_b64 exec, exec, s[4:5]
	s_waitcnt lgkmcnt(3)
	ds_bpermute_b32 v0, v12, v26
	s_waitcnt lgkmcnt(3)
	ds_bpermute_b32 v1, v12, v27
	;; [unrolled: 2-line block ×4, first 2 shown]
	v_or_b32_e32 v4, 8, v10
	v_mov_b32_e32 v5, v11
	v_cmp_lt_u64_e64 s[0:1], v[4:5], v[8:9]
	s_and_b64 s[0:1], vcc, s[0:1]
	s_and_saveexec_b64 s[4:5], s[0:1]
	s_cbranch_execz .LBB47_34
; %bb.33:
	v_mad_u64_u32 v[14:15], s[0:1], v4, s2, 0
	v_mov_b32_e32 v16, v15
	v_mad_u64_u32 v[4:5], s[0:1], v4, s3, v[16:17]
	v_mov_b32_e32 v15, v4
	v_lshlrev_b64 v[4:5], 4, v[14:15]
	v_add_co_u32_e64 v4, s[0:1], v6, v4
	v_addc_co_u32_e64 v5, s[0:1], v7, v5, s[0:1]
	global_load_dwordx4 v[14:17], v[4:5], off
	s_waitcnt lgkmcnt(0)
	v_mul_f64 v[18:19], s[20:21], v[2:3]
	v_mul_f64 v[2:3], s[18:19], v[2:3]
	v_fma_f64 v[18:19], s[18:19], v[0:1], -v[18:19]
	v_fmac_f64_e32 v[2:3], s[20:21], v[0:1]
	s_waitcnt vmcnt(0)
	v_mul_f64 v[0:1], s[48:49], v[16:17]
	v_mul_f64 v[16:17], s[46:47], v[16:17]
	v_fma_f64 v[0:1], s[46:47], v[14:15], -v[0:1]
	v_fmac_f64_e32 v[16:17], s[48:49], v[14:15]
	v_add_f64 v[0:1], v[18:19], v[0:1]
	v_add_f64 v[2:3], v[2:3], v[16:17]
	global_store_dwordx4 v[4:5], v[0:3], off
.LBB47_34:
	s_or_b64 exec, exec, s[4:5]
	s_waitcnt lgkmcnt(3)
	ds_bpermute_b32 v0, v12, v22
	s_waitcnt lgkmcnt(3)
	ds_bpermute_b32 v1, v12, v23
	;; [unrolled: 2-line block ×4, first 2 shown]
	v_or_b32_e32 v10, 12, v10
	v_cmp_lt_u64_e64 s[0:1], v[10:11], v[8:9]
	s_and_b64 s[0:1], vcc, s[0:1]
	s_and_b64 exec, exec, s[0:1]
	s_cbranch_execz .LBB47_36
; %bb.35:
	v_mad_u64_u32 v[4:5], s[0:1], v10, s2, 0
	v_mov_b32_e32 v8, v5
	v_mad_u64_u32 v[8:9], s[0:1], v10, s3, v[8:9]
	v_mov_b32_e32 v5, v8
	v_lshlrev_b64 v[4:5], 4, v[4:5]
	v_add_co_u32_e32 v8, vcc, v6, v4
	v_addc_co_u32_e32 v9, vcc, v7, v5, vcc
	global_load_dwordx4 v[4:7], v[8:9], off
	s_waitcnt lgkmcnt(0)
	v_mul_f64 v[10:11], s[20:21], v[2:3]
	v_mul_f64 v[2:3], s[18:19], v[2:3]
	v_fma_f64 v[10:11], s[18:19], v[0:1], -v[10:11]
	v_fmac_f64_e32 v[2:3], s[20:21], v[0:1]
	s_waitcnt vmcnt(0)
	v_mul_f64 v[0:1], s[48:49], v[6:7]
	v_mul_f64 v[6:7], s[46:47], v[6:7]
	v_fma_f64 v[0:1], s[46:47], v[4:5], -v[0:1]
	v_fmac_f64_e32 v[6:7], s[48:49], v[4:5]
	v_add_f64 v[0:1], v[10:11], v[0:1]
	v_add_f64 v[2:3], v[2:3], v[6:7]
	global_store_dwordx4 v[8:9], v[0:3], off
.LBB47_36:
	s_endpgm
	.section	.rodata,"a",@progbits
	.p2align	6, 0x0
	.amdhsa_kernel _ZN9rocsolver6v33100L16mfma_gemm_kernelI19rocblas_complex_numIdElS3_PKPS3_S4_S6_EEv18rocblas_operation_S7_T0_S8_S8_T1_T2_lS8_S8_lT3_lS8_S8_lS9_T4_lS8_S8_l
		.amdhsa_group_segment_fixed_size 0
		.amdhsa_private_segment_fixed_size 0
		.amdhsa_kernarg_size 440
		.amdhsa_user_sgpr_count 6
		.amdhsa_user_sgpr_private_segment_buffer 1
		.amdhsa_user_sgpr_dispatch_ptr 0
		.amdhsa_user_sgpr_queue_ptr 0
		.amdhsa_user_sgpr_kernarg_segment_ptr 1
		.amdhsa_user_sgpr_dispatch_id 0
		.amdhsa_user_sgpr_flat_scratch_init 0
		.amdhsa_user_sgpr_kernarg_preload_length 0
		.amdhsa_user_sgpr_kernarg_preload_offset 0
		.amdhsa_user_sgpr_private_segment_size 0
		.amdhsa_uses_dynamic_stack 0
		.amdhsa_system_sgpr_private_segment_wavefront_offset 0
		.amdhsa_system_sgpr_workgroup_id_x 1
		.amdhsa_system_sgpr_workgroup_id_y 1
		.amdhsa_system_sgpr_workgroup_id_z 1
		.amdhsa_system_sgpr_workgroup_info 0
		.amdhsa_system_vgpr_workitem_id 1
		.amdhsa_next_free_vgpr 70
		.amdhsa_next_free_sgpr 56
		.amdhsa_accum_offset 72
		.amdhsa_reserve_vcc 1
		.amdhsa_reserve_flat_scratch 0
		.amdhsa_float_round_mode_32 0
		.amdhsa_float_round_mode_16_64 0
		.amdhsa_float_denorm_mode_32 3
		.amdhsa_float_denorm_mode_16_64 3
		.amdhsa_dx10_clamp 1
		.amdhsa_ieee_mode 1
		.amdhsa_fp16_overflow 0
		.amdhsa_tg_split 0
		.amdhsa_exception_fp_ieee_invalid_op 0
		.amdhsa_exception_fp_denorm_src 0
		.amdhsa_exception_fp_ieee_div_zero 0
		.amdhsa_exception_fp_ieee_overflow 0
		.amdhsa_exception_fp_ieee_underflow 0
		.amdhsa_exception_fp_ieee_inexact 0
		.amdhsa_exception_int_div_zero 0
	.end_amdhsa_kernel
	.section	.text._ZN9rocsolver6v33100L16mfma_gemm_kernelI19rocblas_complex_numIdElS3_PKPS3_S4_S6_EEv18rocblas_operation_S7_T0_S8_S8_T1_T2_lS8_S8_lT3_lS8_S8_lS9_T4_lS8_S8_l,"axG",@progbits,_ZN9rocsolver6v33100L16mfma_gemm_kernelI19rocblas_complex_numIdElS3_PKPS3_S4_S6_EEv18rocblas_operation_S7_T0_S8_S8_T1_T2_lS8_S8_lT3_lS8_S8_lS9_T4_lS8_S8_l,comdat
.Lfunc_end47:
	.size	_ZN9rocsolver6v33100L16mfma_gemm_kernelI19rocblas_complex_numIdElS3_PKPS3_S4_S6_EEv18rocblas_operation_S7_T0_S8_S8_T1_T2_lS8_S8_lT3_lS8_S8_lS9_T4_lS8_S8_l, .Lfunc_end47-_ZN9rocsolver6v33100L16mfma_gemm_kernelI19rocblas_complex_numIdElS3_PKPS3_S4_S6_EEv18rocblas_operation_S7_T0_S8_S8_T1_T2_lS8_S8_lT3_lS8_S8_lS9_T4_lS8_S8_l
                                        ; -- End function
	.section	.AMDGPU.csdata,"",@progbits
; Kernel info:
; codeLenInByte = 2996
; NumSgprs: 60
; NumVgprs: 70
; NumAgprs: 0
; TotalNumVgprs: 70
; ScratchSize: 0
; MemoryBound: 1
; FloatMode: 240
; IeeeMode: 1
; LDSByteSize: 0 bytes/workgroup (compile time only)
; SGPRBlocks: 7
; VGPRBlocks: 8
; NumSGPRsForWavesPerEU: 60
; NumVGPRsForWavesPerEU: 70
; AccumOffset: 72
; Occupancy: 7
; WaveLimiterHint : 1
; COMPUTE_PGM_RSRC2:SCRATCH_EN: 0
; COMPUTE_PGM_RSRC2:USER_SGPR: 6
; COMPUTE_PGM_RSRC2:TRAP_HANDLER: 0
; COMPUTE_PGM_RSRC2:TGID_X_EN: 1
; COMPUTE_PGM_RSRC2:TGID_Y_EN: 1
; COMPUTE_PGM_RSRC2:TGID_Z_EN: 1
; COMPUTE_PGM_RSRC2:TIDIG_COMP_CNT: 1
; COMPUTE_PGM_RSRC3_GFX90A:ACCUM_OFFSET: 17
; COMPUTE_PGM_RSRC3_GFX90A:TG_SPLIT: 0
	.section	.text._ZN9rocsolver6v33100L11gemm_kernelI19rocblas_complex_numIdElPKS3_PKPS3_S6_S8_EEvT0_S9_S9_T1_bT2_lS9_S9_lbT3_lS9_S9_lSA_T4_lS9_S9_l,"axG",@progbits,_ZN9rocsolver6v33100L11gemm_kernelI19rocblas_complex_numIdElPKS3_PKPS3_S6_S8_EEvT0_S9_S9_T1_bT2_lS9_S9_lbT3_lS9_S9_lSA_T4_lS9_S9_l,comdat
	.globl	_ZN9rocsolver6v33100L11gemm_kernelI19rocblas_complex_numIdElPKS3_PKPS3_S6_S8_EEvT0_S9_S9_T1_bT2_lS9_S9_lbT3_lS9_S9_lSA_T4_lS9_S9_l ; -- Begin function _ZN9rocsolver6v33100L11gemm_kernelI19rocblas_complex_numIdElPKS3_PKPS3_S6_S8_EEvT0_S9_S9_T1_bT2_lS9_S9_lbT3_lS9_S9_lSA_T4_lS9_S9_l
	.p2align	8
	.type	_ZN9rocsolver6v33100L11gemm_kernelI19rocblas_complex_numIdElPKS3_PKPS3_S6_S8_EEvT0_S9_S9_T1_bT2_lS9_S9_lbT3_lS9_S9_lSA_T4_lS9_S9_l,@function
_ZN9rocsolver6v33100L11gemm_kernelI19rocblas_complex_numIdElPKS3_PKPS3_S6_S8_EEvT0_S9_S9_T1_bT2_lS9_S9_lbT3_lS9_S9_lSA_T4_lS9_S9_l: ; @_ZN9rocsolver6v33100L11gemm_kernelI19rocblas_complex_numIdElPKS3_PKPS3_S6_S8_EEvT0_S9_S9_T1_bT2_lS9_S9_lbT3_lS9_S9_lSA_T4_lS9_S9_l
; %bb.0:
	s_load_dword s0, s[4:5], 0xbc
	s_load_dwordx8 s[24:31], s[4:5], 0x0
	v_and_b32_e32 v4, 0x3ff, v0
	v_mov_b32_e32 v5, 0
	v_mov_b32_e32 v1, s6
	s_waitcnt lgkmcnt(0)
	s_lshr_b32 s2, s0, 16
	s_and_b32 s0, s0, 0xffff
	v_mad_u64_u32 v[2:3], s[0:1], s0, v1, v[4:5]
	v_bfe_u32 v4, v0, 10, 10
	v_mov_b32_e32 v0, s7
	v_mad_u64_u32 v[0:1], s[0:1], s2, v0, v[4:5]
	v_cmp_gt_i64_e32 vcc, s[24:25], v[2:3]
	v_cmp_gt_i64_e64 s[0:1], s[26:27], v[0:1]
	s_mov_b32 s9, 0
	s_and_b64 s[0:1], vcc, s[0:1]
	s_and_saveexec_b64 s[2:3], s[0:1]
	s_cbranch_execz .LBB48_5
; %bb.1:
	s_load_dwordx16 s[12:27], s[4:5], 0x58
	s_lshl_b64 s[0:1], s[8:9], 3
	v_cmp_lt_i64_e64 s[2:3], s[28:29], 1
	v_pk_mov_b32 v[4:5], 0, 0
	v_pk_mov_b32 v[6:7], v[4:5], v[4:5] op_sel:[0,1]
	s_waitcnt lgkmcnt(0)
	s_add_u32 s6, s24, s0
	s_addc_u32 s7, s25, s1
	s_load_dwordx2 s[6:7], s[6:7], 0x0
	s_and_b64 vcc, exec, s[2:3]
	s_cbranch_vccnz .LBB48_4
; %bb.2:
	s_load_dwordx8 s[36:43], s[4:5], 0x28
	s_load_dword s9, s[4:5], 0x20
	s_load_dword s10, s[4:5], 0x50
	s_waitcnt lgkmcnt(0)
	s_add_u32 s0, s36, s0
	s_addc_u32 s1, s37, s1
	s_load_dwordx2 s[2:3], s[0:1], 0x0
	s_bitcmp1_b32 s9, 0
	s_cselect_b64 vcc, -1, 0
	s_bitcmp1_b32 s10, 0
	v_mad_u64_u32 v[4:5], s[10:11], s40, v2, 0
	s_cselect_b64 s[0:1], -1, 0
	v_mul_lo_u32 v6, s41, v2
	v_mul_lo_u32 v7, s40, v3
	s_lshl_b64 s[10:11], s[38:39], 4
	v_add3_u32 v5, v5, v7, v6
	s_waitcnt lgkmcnt(0)
	s_add_u32 s2, s2, s10
	v_lshlrev_b64 v[4:5], 4, v[4:5]
	s_addc_u32 s3, s3, s11
	v_mov_b32_e32 v6, s3
	v_add_co_u32_e64 v4, s[2:3], s2, v4
	v_addc_co_u32_e64 v5, s[2:3], v6, v5, s[2:3]
	v_add_co_u32_e64 v8, s[2:3], 8, v4
	v_addc_co_u32_e64 v9, s[2:3], 0, v5, s[2:3]
	v_mad_u64_u32 v[4:5], s[2:3], s18, v0, 0
	s_mul_i32 s2, s21, s8
	s_mul_hi_u32 s3, s20, s8
	s_add_i32 s3, s3, s2
	s_mul_i32 s2, s20, s8
	s_lshl_b64 s[10:11], s[42:43], 4
	s_lshl_b64 s[2:3], s[2:3], 4
	;; [unrolled: 1-line block ×3, first 2 shown]
	s_add_u32 s8, s12, s8
	v_mul_lo_u32 v6, s19, v0
	v_mul_lo_u32 v7, s18, v1
	s_addc_u32 s9, s13, s9
	v_add3_u32 v5, v5, v7, v6
	s_add_u32 s2, s8, s2
	v_lshlrev_b64 v[4:5], 4, v[4:5]
	s_addc_u32 s3, s9, s3
	v_mov_b32_e32 v6, s3
	v_add_co_u32_e64 v4, s[2:3], s2, v4
	v_addc_co_u32_e64 v5, s[2:3], v6, v5, s[2:3]
	v_add_co_u32_e64 v10, s[2:3], 8, v4
	v_addc_co_u32_e64 v11, s[2:3], 0, v5, s[2:3]
	s_lshl_b64 s[8:9], s[16:17], 4
	v_pk_mov_b32 v[4:5], 0, 0
	v_mov_b32_e32 v12, s11
	v_mov_b32_e32 v13, s9
	v_pk_mov_b32 v[6:7], v[4:5], v[4:5] op_sel:[0,1]
.LBB48_3:                               ; =>This Inner Loop Header: Depth=1
	global_load_dwordx4 v[14:17], v[8:9], off offset:-8
	global_load_dwordx4 v[18:21], v[10:11], off offset:-8
	v_add_co_u32_e64 v8, s[2:3], s10, v8
	s_add_u32 s28, s28, -1
	v_addc_co_u32_e64 v9, s[2:3], v9, v12, s[2:3]
	v_add_co_u32_e64 v10, s[2:3], s8, v10
	s_addc_u32 s29, s29, -1
	v_addc_co_u32_e64 v11, s[2:3], v11, v13, s[2:3]
	s_cmp_eq_u64 s[28:29], 0
	s_waitcnt vmcnt(1)
	v_xor_b32_e32 v22, 0x80000000, v17
	s_waitcnt vmcnt(0)
	v_xor_b32_e32 v23, 0x80000000, v21
	v_cndmask_b32_e32 v17, v17, v22, vcc
	v_cndmask_b32_e64 v21, v21, v23, s[0:1]
	v_mul_f64 v[22:23], v[16:17], v[20:21]
	v_mul_f64 v[16:17], v[16:17], v[18:19]
	v_fma_f64 v[18:19], v[14:15], v[18:19], -v[22:23]
	v_fmac_f64_e32 v[16:17], v[14:15], v[20:21]
	v_add_f64 v[6:7], v[6:7], v[18:19]
	v_add_f64 v[4:5], v[4:5], v[16:17]
	s_cbranch_scc0 .LBB48_3
.LBB48_4:
	s_load_dwordx4 s[8:11], s[30:31], 0x0
	s_load_dwordx4 s[0:3], s[22:23], 0x0
                                        ; kill: killed $sgpr30_sgpr31
                                        ; kill: killed $sgpr22_sgpr23
	s_load_dwordx4 s[12:15], s[4:5], 0x98
	s_lshl_b64 s[4:5], s[26:27], 4
	s_waitcnt lgkmcnt(0)
	s_add_u32 s6, s6, s4
	s_addc_u32 s7, s7, s5
	v_mul_f64 v[10:11], s[10:11], v[4:5]
	v_mul_lo_u32 v8, v3, s12
	v_mul_lo_u32 v9, v2, s13
	v_mad_u64_u32 v[2:3], s[4:5], v2, s12, 0
	v_add3_u32 v3, v3, v9, v8
	v_mul_lo_u32 v8, v1, s14
	v_mul_lo_u32 v9, v0, s15
	v_mad_u64_u32 v[0:1], s[4:5], v0, s14, 0
	v_lshlrev_b64 v[2:3], 4, v[2:3]
	v_add3_u32 v1, v1, v9, v8
	v_mov_b32_e32 v8, s7
	v_add_co_u32_e32 v2, vcc, s6, v2
	v_addc_co_u32_e32 v3, vcc, v8, v3, vcc
	v_lshlrev_b64 v[0:1], 4, v[0:1]
	v_add_co_u32_e32 v8, vcc, v2, v0
	v_addc_co_u32_e32 v9, vcc, v3, v1, vcc
	global_load_dwordx4 v[0:3], v[8:9], off
	v_mul_f64 v[4:5], s[8:9], v[4:5]
	v_fma_f64 v[10:11], s[8:9], v[6:7], -v[10:11]
	v_fmac_f64_e32 v[4:5], s[10:11], v[6:7]
	s_waitcnt vmcnt(0)
	v_mul_f64 v[6:7], s[2:3], v[2:3]
	v_mul_f64 v[2:3], s[0:1], v[2:3]
	v_fma_f64 v[6:7], s[0:1], v[0:1], -v[6:7]
	v_fmac_f64_e32 v[2:3], s[2:3], v[0:1]
	v_add_f64 v[0:1], v[10:11], v[6:7]
	v_add_f64 v[2:3], v[4:5], v[2:3]
	global_store_dwordx4 v[8:9], v[0:3], off
.LBB48_5:
	s_endpgm
	.section	.rodata,"a",@progbits
	.p2align	6, 0x0
	.amdhsa_kernel _ZN9rocsolver6v33100L11gemm_kernelI19rocblas_complex_numIdElPKS3_PKPS3_S6_S8_EEvT0_S9_S9_T1_bT2_lS9_S9_lbT3_lS9_S9_lSA_T4_lS9_S9_l
		.amdhsa_group_segment_fixed_size 0
		.amdhsa_private_segment_fixed_size 0
		.amdhsa_kernarg_size 432
		.amdhsa_user_sgpr_count 6
		.amdhsa_user_sgpr_private_segment_buffer 1
		.amdhsa_user_sgpr_dispatch_ptr 0
		.amdhsa_user_sgpr_queue_ptr 0
		.amdhsa_user_sgpr_kernarg_segment_ptr 1
		.amdhsa_user_sgpr_dispatch_id 0
		.amdhsa_user_sgpr_flat_scratch_init 0
		.amdhsa_user_sgpr_kernarg_preload_length 0
		.amdhsa_user_sgpr_kernarg_preload_offset 0
		.amdhsa_user_sgpr_private_segment_size 0
		.amdhsa_uses_dynamic_stack 0
		.amdhsa_system_sgpr_private_segment_wavefront_offset 0
		.amdhsa_system_sgpr_workgroup_id_x 1
		.amdhsa_system_sgpr_workgroup_id_y 1
		.amdhsa_system_sgpr_workgroup_id_z 1
		.amdhsa_system_sgpr_workgroup_info 0
		.amdhsa_system_vgpr_workitem_id 1
		.amdhsa_next_free_vgpr 24
		.amdhsa_next_free_sgpr 44
		.amdhsa_accum_offset 24
		.amdhsa_reserve_vcc 1
		.amdhsa_reserve_flat_scratch 0
		.amdhsa_float_round_mode_32 0
		.amdhsa_float_round_mode_16_64 0
		.amdhsa_float_denorm_mode_32 3
		.amdhsa_float_denorm_mode_16_64 3
		.amdhsa_dx10_clamp 1
		.amdhsa_ieee_mode 1
		.amdhsa_fp16_overflow 0
		.amdhsa_tg_split 0
		.amdhsa_exception_fp_ieee_invalid_op 0
		.amdhsa_exception_fp_denorm_src 0
		.amdhsa_exception_fp_ieee_div_zero 0
		.amdhsa_exception_fp_ieee_overflow 0
		.amdhsa_exception_fp_ieee_underflow 0
		.amdhsa_exception_fp_ieee_inexact 0
		.amdhsa_exception_int_div_zero 0
	.end_amdhsa_kernel
	.section	.text._ZN9rocsolver6v33100L11gemm_kernelI19rocblas_complex_numIdElPKS3_PKPS3_S6_S8_EEvT0_S9_S9_T1_bT2_lS9_S9_lbT3_lS9_S9_lSA_T4_lS9_S9_l,"axG",@progbits,_ZN9rocsolver6v33100L11gemm_kernelI19rocblas_complex_numIdElPKS3_PKPS3_S6_S8_EEvT0_S9_S9_T1_bT2_lS9_S9_lbT3_lS9_S9_lSA_T4_lS9_S9_l,comdat
.Lfunc_end48:
	.size	_ZN9rocsolver6v33100L11gemm_kernelI19rocblas_complex_numIdElPKS3_PKPS3_S6_S8_EEvT0_S9_S9_T1_bT2_lS9_S9_lbT3_lS9_S9_lSA_T4_lS9_S9_l, .Lfunc_end48-_ZN9rocsolver6v33100L11gemm_kernelI19rocblas_complex_numIdElPKS3_PKPS3_S6_S8_EEvT0_S9_S9_T1_bT2_lS9_S9_lbT3_lS9_S9_lSA_T4_lS9_S9_l
                                        ; -- End function
	.section	.AMDGPU.csdata,"",@progbits
; Kernel info:
; codeLenInByte = 848
; NumSgprs: 48
; NumVgprs: 24
; NumAgprs: 0
; TotalNumVgprs: 24
; ScratchSize: 0
; MemoryBound: 0
; FloatMode: 240
; IeeeMode: 1
; LDSByteSize: 0 bytes/workgroup (compile time only)
; SGPRBlocks: 5
; VGPRBlocks: 2
; NumSGPRsForWavesPerEU: 48
; NumVGPRsForWavesPerEU: 24
; AccumOffset: 24
; Occupancy: 8
; WaveLimiterHint : 1
; COMPUTE_PGM_RSRC2:SCRATCH_EN: 0
; COMPUTE_PGM_RSRC2:USER_SGPR: 6
; COMPUTE_PGM_RSRC2:TRAP_HANDLER: 0
; COMPUTE_PGM_RSRC2:TGID_X_EN: 1
; COMPUTE_PGM_RSRC2:TGID_Y_EN: 1
; COMPUTE_PGM_RSRC2:TGID_Z_EN: 1
; COMPUTE_PGM_RSRC2:TIDIG_COMP_CNT: 1
; COMPUTE_PGM_RSRC3_GFX90A:ACCUM_OFFSET: 5
; COMPUTE_PGM_RSRC3_GFX90A:TG_SPLIT: 0
	.section	.text._ZN9rocsolver6v33100L11gemm_kernelI19rocblas_complex_numIdElS3_PKPS3_S4_S6_EEvT0_S7_S7_T1_bT2_lS7_S7_lbT3_lS7_S7_lS8_T4_lS7_S7_l,"axG",@progbits,_ZN9rocsolver6v33100L11gemm_kernelI19rocblas_complex_numIdElS3_PKPS3_S4_S6_EEvT0_S7_S7_T1_bT2_lS7_S7_lbT3_lS7_S7_lS8_T4_lS7_S7_l,comdat
	.globl	_ZN9rocsolver6v33100L11gemm_kernelI19rocblas_complex_numIdElS3_PKPS3_S4_S6_EEvT0_S7_S7_T1_bT2_lS7_S7_lbT3_lS7_S7_lS8_T4_lS7_S7_l ; -- Begin function _ZN9rocsolver6v33100L11gemm_kernelI19rocblas_complex_numIdElS3_PKPS3_S4_S6_EEvT0_S7_S7_T1_bT2_lS7_S7_lbT3_lS7_S7_lS8_T4_lS7_S7_l
	.p2align	8
	.type	_ZN9rocsolver6v33100L11gemm_kernelI19rocblas_complex_numIdElS3_PKPS3_S4_S6_EEvT0_S7_S7_T1_bT2_lS7_S7_lbT3_lS7_S7_lS8_T4_lS7_S7_l,@function
_ZN9rocsolver6v33100L11gemm_kernelI19rocblas_complex_numIdElS3_PKPS3_S4_S6_EEvT0_S7_S7_T1_bT2_lS7_S7_lbT3_lS7_S7_lS8_T4_lS7_S7_l: ; @_ZN9rocsolver6v33100L11gemm_kernelI19rocblas_complex_numIdElS3_PKPS3_S4_S6_EEvT0_S7_S7_T1_bT2_lS7_S7_lbT3_lS7_S7_lS8_T4_lS7_S7_l
; %bb.0:
	s_load_dword s0, s[4:5], 0xcc
	s_load_dwordx8 s[24:31], s[4:5], 0x0
	v_and_b32_e32 v4, 0x3ff, v0
	v_mov_b32_e32 v5, 0
	v_mov_b32_e32 v1, s6
	s_waitcnt lgkmcnt(0)
	s_lshr_b32 s2, s0, 16
	s_and_b32 s0, s0, 0xffff
	v_mad_u64_u32 v[2:3], s[0:1], s0, v1, v[4:5]
	v_bfe_u32 v4, v0, 10, 10
	v_mov_b32_e32 v0, s7
	v_mad_u64_u32 v[0:1], s[0:1], s2, v0, v[4:5]
	v_cmp_gt_i64_e32 vcc, s[24:25], v[2:3]
	v_cmp_gt_i64_e64 s[0:1], s[26:27], v[0:1]
	s_mov_b32 s9, 0
	s_and_b64 s[0:1], vcc, s[0:1]
	s_and_saveexec_b64 s[2:3], s[0:1]
	s_cbranch_execz .LBB49_5
; %bb.1:
	s_load_dwordx16 s[12:27], s[4:5], 0x60
	s_load_dwordx2 s[6:7], s[4:5], 0x20
	s_lshl_b64 s[0:1], s[8:9], 3
	v_cmp_lt_i64_e64 s[2:3], s[28:29], 1
	v_pk_mov_b32 v[4:5], 0, 0
	s_waitcnt lgkmcnt(0)
	s_add_u32 s10, s26, s0
	s_addc_u32 s11, s27, s1
	s_load_dwordx2 s[10:11], s[10:11], 0x0
	s_and_b64 vcc, exec, s[2:3]
	v_pk_mov_b32 v[6:7], v[4:5], v[4:5] op_sel:[0,1]
	s_cbranch_vccnz .LBB49_4
; %bb.2:
	s_load_dwordx8 s[36:43], s[4:5], 0x30
	s_load_dword s9, s[4:5], 0x28
	s_load_dword s26, s[4:5], 0x58
	s_waitcnt lgkmcnt(0)
	s_add_u32 s0, s36, s0
	s_addc_u32 s1, s37, s1
	s_load_dwordx2 s[2:3], s[0:1], 0x0
	s_bitcmp1_b32 s9, 0
	s_cselect_b64 vcc, -1, 0
	s_bitcmp1_b32 s26, 0
	v_mad_u64_u32 v[4:5], s[26:27], s40, v2, 0
	s_cselect_b64 s[0:1], -1, 0
	v_mul_lo_u32 v6, s41, v2
	v_mul_lo_u32 v7, s40, v3
	s_lshl_b64 s[26:27], s[38:39], 4
	v_add3_u32 v5, v5, v7, v6
	s_waitcnt lgkmcnt(0)
	s_add_u32 s2, s2, s26
	v_lshlrev_b64 v[4:5], 4, v[4:5]
	s_addc_u32 s3, s3, s27
	v_mov_b32_e32 v6, s3
	v_add_co_u32_e64 v4, s[2:3], s2, v4
	v_addc_co_u32_e64 v5, s[2:3], v6, v5, s[2:3]
	v_add_co_u32_e64 v8, s[2:3], 8, v4
	v_addc_co_u32_e64 v9, s[2:3], 0, v5, s[2:3]
	v_mad_u64_u32 v[4:5], s[2:3], s18, v0, 0
	s_mul_i32 s2, s21, s8
	s_mul_hi_u32 s3, s20, s8
	s_add_i32 s3, s3, s2
	s_mul_i32 s2, s20, s8
	s_lshl_b64 s[26:27], s[42:43], 4
	s_lshl_b64 s[2:3], s[2:3], 4
	;; [unrolled: 1-line block ×3, first 2 shown]
	s_add_u32 s8, s12, s8
	v_mul_lo_u32 v6, s19, v0
	v_mul_lo_u32 v7, s18, v1
	s_addc_u32 s9, s13, s9
	v_add3_u32 v5, v5, v7, v6
	s_add_u32 s2, s8, s2
	v_lshlrev_b64 v[4:5], 4, v[4:5]
	s_addc_u32 s3, s9, s3
	v_mov_b32_e32 v6, s3
	v_add_co_u32_e64 v4, s[2:3], s2, v4
	v_addc_co_u32_e64 v5, s[2:3], v6, v5, s[2:3]
	v_add_co_u32_e64 v10, s[2:3], 8, v4
	v_addc_co_u32_e64 v11, s[2:3], 0, v5, s[2:3]
	s_lshl_b64 s[8:9], s[16:17], 4
	v_pk_mov_b32 v[4:5], 0, 0
	v_mov_b32_e32 v12, s27
	v_mov_b32_e32 v13, s9
	v_pk_mov_b32 v[6:7], v[4:5], v[4:5] op_sel:[0,1]
.LBB49_3:                               ; =>This Inner Loop Header: Depth=1
	global_load_dwordx4 v[14:17], v[8:9], off offset:-8
	global_load_dwordx4 v[18:21], v[10:11], off offset:-8
	v_add_co_u32_e64 v8, s[2:3], s26, v8
	s_add_u32 s28, s28, -1
	v_addc_co_u32_e64 v9, s[2:3], v9, v12, s[2:3]
	v_add_co_u32_e64 v10, s[2:3], s8, v10
	s_addc_u32 s29, s29, -1
	v_addc_co_u32_e64 v11, s[2:3], v11, v13, s[2:3]
	s_cmp_eq_u64 s[28:29], 0
	s_waitcnt vmcnt(1)
	v_xor_b32_e32 v22, 0x80000000, v17
	s_waitcnt vmcnt(0)
	v_xor_b32_e32 v23, 0x80000000, v21
	v_cndmask_b32_e32 v17, v17, v22, vcc
	v_cndmask_b32_e64 v21, v21, v23, s[0:1]
	v_mul_f64 v[22:23], v[16:17], v[20:21]
	v_mul_f64 v[16:17], v[16:17], v[18:19]
	v_fma_f64 v[18:19], v[14:15], v[18:19], -v[22:23]
	v_fmac_f64_e32 v[16:17], v[14:15], v[20:21]
	v_add_f64 v[6:7], v[6:7], v[18:19]
	v_add_f64 v[4:5], v[4:5], v[16:17]
	s_cbranch_scc0 .LBB49_3
.LBB49_4:
	s_load_dwordx4 s[0:3], s[4:5], 0xa0
	s_load_dwordx2 s[8:9], s[4:5], 0xb0
	v_mul_f64 v[10:11], s[6:7], v[4:5]
	v_mul_f64 v[4:5], s[30:31], v[4:5]
	v_fma_f64 v[10:11], s[30:31], v[6:7], -v[10:11]
	s_waitcnt lgkmcnt(0)
	s_lshl_b64 s[0:1], s[0:1], 4
	v_mul_lo_u32 v9, v2, s3
	s_add_u32 s3, s10, s0
	v_mul_lo_u32 v8, v3, s2
	s_addc_u32 s4, s11, s1
	v_mad_u64_u32 v[2:3], s[0:1], v2, s2, 0
	v_add3_u32 v3, v3, v9, v8
	v_mul_lo_u32 v8, v1, s8
	v_mul_lo_u32 v9, v0, s9
	v_mad_u64_u32 v[0:1], s[0:1], v0, s8, 0
	v_lshlrev_b64 v[2:3], 4, v[2:3]
	v_add3_u32 v1, v1, v9, v8
	v_mov_b32_e32 v8, s4
	v_add_co_u32_e32 v2, vcc, s3, v2
	v_addc_co_u32_e32 v3, vcc, v8, v3, vcc
	v_lshlrev_b64 v[0:1], 4, v[0:1]
	v_add_co_u32_e32 v8, vcc, v2, v0
	v_addc_co_u32_e32 v9, vcc, v3, v1, vcc
	global_load_dwordx4 v[0:3], v[8:9], off
	v_fmac_f64_e32 v[4:5], s[6:7], v[6:7]
	s_waitcnt vmcnt(0)
	v_mul_f64 v[6:7], s[24:25], v[2:3]
	v_mul_f64 v[2:3], s[22:23], v[2:3]
	v_fma_f64 v[6:7], s[22:23], v[0:1], -v[6:7]
	v_fmac_f64_e32 v[2:3], s[24:25], v[0:1]
	v_add_f64 v[0:1], v[10:11], v[6:7]
	v_add_f64 v[2:3], v[4:5], v[2:3]
	global_store_dwordx4 v[8:9], v[0:3], off
.LBB49_5:
	s_endpgm
	.section	.rodata,"a",@progbits
	.p2align	6, 0x0
	.amdhsa_kernel _ZN9rocsolver6v33100L11gemm_kernelI19rocblas_complex_numIdElS3_PKPS3_S4_S6_EEvT0_S7_S7_T1_bT2_lS7_S7_lbT3_lS7_S7_lS8_T4_lS7_S7_l
		.amdhsa_group_segment_fixed_size 0
		.amdhsa_private_segment_fixed_size 0
		.amdhsa_kernarg_size 448
		.amdhsa_user_sgpr_count 6
		.amdhsa_user_sgpr_private_segment_buffer 1
		.amdhsa_user_sgpr_dispatch_ptr 0
		.amdhsa_user_sgpr_queue_ptr 0
		.amdhsa_user_sgpr_kernarg_segment_ptr 1
		.amdhsa_user_sgpr_dispatch_id 0
		.amdhsa_user_sgpr_flat_scratch_init 0
		.amdhsa_user_sgpr_kernarg_preload_length 0
		.amdhsa_user_sgpr_kernarg_preload_offset 0
		.amdhsa_user_sgpr_private_segment_size 0
		.amdhsa_uses_dynamic_stack 0
		.amdhsa_system_sgpr_private_segment_wavefront_offset 0
		.amdhsa_system_sgpr_workgroup_id_x 1
		.amdhsa_system_sgpr_workgroup_id_y 1
		.amdhsa_system_sgpr_workgroup_id_z 1
		.amdhsa_system_sgpr_workgroup_info 0
		.amdhsa_system_vgpr_workitem_id 1
		.amdhsa_next_free_vgpr 24
		.amdhsa_next_free_sgpr 44
		.amdhsa_accum_offset 24
		.amdhsa_reserve_vcc 1
		.amdhsa_reserve_flat_scratch 0
		.amdhsa_float_round_mode_32 0
		.amdhsa_float_round_mode_16_64 0
		.amdhsa_float_denorm_mode_32 3
		.amdhsa_float_denorm_mode_16_64 3
		.amdhsa_dx10_clamp 1
		.amdhsa_ieee_mode 1
		.amdhsa_fp16_overflow 0
		.amdhsa_tg_split 0
		.amdhsa_exception_fp_ieee_invalid_op 0
		.amdhsa_exception_fp_denorm_src 0
		.amdhsa_exception_fp_ieee_div_zero 0
		.amdhsa_exception_fp_ieee_overflow 0
		.amdhsa_exception_fp_ieee_underflow 0
		.amdhsa_exception_fp_ieee_inexact 0
		.amdhsa_exception_int_div_zero 0
	.end_amdhsa_kernel
	.section	.text._ZN9rocsolver6v33100L11gemm_kernelI19rocblas_complex_numIdElS3_PKPS3_S4_S6_EEvT0_S7_S7_T1_bT2_lS7_S7_lbT3_lS7_S7_lS8_T4_lS7_S7_l,"axG",@progbits,_ZN9rocsolver6v33100L11gemm_kernelI19rocblas_complex_numIdElS3_PKPS3_S4_S6_EEvT0_S7_S7_T1_bT2_lS7_S7_lbT3_lS7_S7_lS8_T4_lS7_S7_l,comdat
.Lfunc_end49:
	.size	_ZN9rocsolver6v33100L11gemm_kernelI19rocblas_complex_numIdElS3_PKPS3_S4_S6_EEvT0_S7_S7_T1_bT2_lS7_S7_lbT3_lS7_S7_lS8_T4_lS7_S7_l, .Lfunc_end49-_ZN9rocsolver6v33100L11gemm_kernelI19rocblas_complex_numIdElS3_PKPS3_S4_S6_EEvT0_S7_S7_T1_bT2_lS7_S7_lbT3_lS7_S7_lS8_T4_lS7_S7_l
                                        ; -- End function
	.section	.AMDGPU.csdata,"",@progbits
; Kernel info:
; codeLenInByte = 848
; NumSgprs: 48
; NumVgprs: 24
; NumAgprs: 0
; TotalNumVgprs: 24
; ScratchSize: 0
; MemoryBound: 0
; FloatMode: 240
; IeeeMode: 1
; LDSByteSize: 0 bytes/workgroup (compile time only)
; SGPRBlocks: 5
; VGPRBlocks: 2
; NumSGPRsForWavesPerEU: 48
; NumVGPRsForWavesPerEU: 24
; AccumOffset: 24
; Occupancy: 8
; WaveLimiterHint : 1
; COMPUTE_PGM_RSRC2:SCRATCH_EN: 0
; COMPUTE_PGM_RSRC2:USER_SGPR: 6
; COMPUTE_PGM_RSRC2:TRAP_HANDLER: 0
; COMPUTE_PGM_RSRC2:TGID_X_EN: 1
; COMPUTE_PGM_RSRC2:TGID_Y_EN: 1
; COMPUTE_PGM_RSRC2:TGID_Z_EN: 1
; COMPUTE_PGM_RSRC2:TIDIG_COMP_CNT: 1
; COMPUTE_PGM_RSRC3_GFX90A:ACCUM_OFFSET: 5
; COMPUTE_PGM_RSRC3_GFX90A:TG_SPLIT: 0
	.section	.text._ZN9rocsolver6v33100L16mfma_gemm_kernelI19rocblas_complex_numIdElPKS3_PKPS3_S8_S6_EEv18rocblas_operation_S9_T0_SA_SA_T1_T2_lSA_SA_lT3_lSA_SA_lSB_T4_lSA_SA_l,"axG",@progbits,_ZN9rocsolver6v33100L16mfma_gemm_kernelI19rocblas_complex_numIdElPKS3_PKPS3_S8_S6_EEv18rocblas_operation_S9_T0_SA_SA_T1_T2_lSA_SA_lT3_lSA_SA_lSB_T4_lSA_SA_l,comdat
	.globl	_ZN9rocsolver6v33100L16mfma_gemm_kernelI19rocblas_complex_numIdElPKS3_PKPS3_S8_S6_EEv18rocblas_operation_S9_T0_SA_SA_T1_T2_lSA_SA_lT3_lSA_SA_lSB_T4_lSA_SA_l ; -- Begin function _ZN9rocsolver6v33100L16mfma_gemm_kernelI19rocblas_complex_numIdElPKS3_PKPS3_S8_S6_EEv18rocblas_operation_S9_T0_SA_SA_T1_T2_lSA_SA_lT3_lSA_SA_lSB_T4_lSA_SA_l
	.p2align	8
	.type	_ZN9rocsolver6v33100L16mfma_gemm_kernelI19rocblas_complex_numIdElPKS3_PKPS3_S8_S6_EEv18rocblas_operation_S9_T0_SA_SA_T1_T2_lSA_SA_lT3_lSA_SA_lSB_T4_lSA_SA_l,@function
_ZN9rocsolver6v33100L16mfma_gemm_kernelI19rocblas_complex_numIdElPKS3_PKPS3_S8_S6_EEv18rocblas_operation_S9_T0_SA_SA_T1_T2_lSA_SA_lT3_lSA_SA_lSB_T4_lSA_SA_l: ; @_ZN9rocsolver6v33100L16mfma_gemm_kernelI19rocblas_complex_numIdElPKS3_PKPS3_S8_S6_EEv18rocblas_operation_S9_T0_SA_SA_T1_T2_lSA_SA_lT3_lSA_SA_lSB_T4_lSA_SA_l
; %bb.0:
	s_load_dword s0, s[4:5], 0xb4
	s_load_dwordx16 s[12:27], s[4:5], 0x8
	v_and_b32_e32 v4, 0x3ff, v0
	v_mov_b32_e32 v9, 0
	v_lshrrev_b32_e32 v8, 6, v4
	s_waitcnt lgkmcnt(0)
	s_lshr_b32 s2, s0, 16
	s_bfe_u32 s0, s0, 0xa0006
	v_bfe_u32 v0, v0, 10, 10
	v_mov_b32_e32 v1, v9
	v_mov_b32_e32 v2, s6
	;; [unrolled: 1-line block ×3, first 2 shown]
	v_mad_u64_u32 v[2:3], s[0:1], s0, v2, v[8:9]
	v_mad_u64_u32 v[0:1], s[0:1], s2, v5, v[0:1]
	v_lshlrev_b64 v[12:13], 4, v[2:3]
	v_lshlrev_b64 v[14:15], 4, v[0:1]
	v_cmp_gt_i64_e32 vcc, s[12:13], v[12:13]
	v_cmp_gt_i64_e64 s[0:1], s[14:15], v[14:15]
	s_and_b64 s[0:1], vcc, s[0:1]
	s_and_saveexec_b64 s[2:3], s[0:1]
	s_cbranch_execz .LBB50_36
; %bb.1:
	s_load_dwordx8 s[36:43], s[4:5], 0x78
	s_load_dwordx4 s[56:59], s[4:5], 0x98
	v_add_co_u32_e32 v6, vcc, 16, v12
	v_addc_co_u32_e32 v7, vcc, 0, v13, vcc
	s_and_b32 s0, s12, 15
	v_mov_b32_e32 v5, s0
	v_cmp_lt_u64_e32 vcc, s[12:13], v[6:7]
	v_cndmask_b32_e32 v8, 16, v5, vcc
	v_add_co_u32_e32 v6, vcc, 16, v14
	s_load_dwordx4 s[52:55], s[18:19], 0x0
	s_waitcnt lgkmcnt(0)
	s_load_dwordx4 s[28:31], s[36:37], 0x0
	v_addc_co_u32_e32 v7, vcc, 0, v15, vcc
	s_and_b32 s0, s14, 15
	v_mov_b32_e32 v5, s0
	v_cmp_lt_u64_e32 vcc, s[14:15], v[6:7]
	v_cndmask_b32_e32 v16, 16, v5, vcc
	v_mov_b32_e32 v17, v9
	v_bfe_u32 v18, v4, 2, 4
	v_mov_b32_e32 v19, v9
	v_cmp_lt_i64_e64 s[0:1], s[16:17], 1
	v_pk_mov_b32 v[34:35], 0, 0
	s_mov_b32 s9, 0
	v_and_b32_e32 v29, 63, v4
	v_and_b32_e32 v10, 3, v4
	v_mov_b32_e32 v11, v9
	s_mov_b64 s[18:19], 0
	s_and_b64 vcc, exec, s[0:1]
	v_cmp_lt_u64_e64 s[0:1], v[18:19], v[16:17]
	v_mbcnt_lo_u32_b32 v46, -1, 0
	v_pk_mov_b32 v[36:37], v[34:35], v[34:35] op_sel:[0,1]
	v_pk_mov_b32 v[20:21], v[34:35], v[34:35] op_sel:[0,1]
	v_pk_mov_b32 v[22:23], v[34:35], v[34:35] op_sel:[0,1]
	v_pk_mov_b32 v[24:25], v[34:35], v[34:35] op_sel:[0,1]
	v_pk_mov_b32 v[26:27], v[34:35], v[34:35] op_sel:[0,1]
	v_pk_mov_b32 v[30:31], v[34:35], v[34:35] op_sel:[0,1]
	v_pk_mov_b32 v[32:33], v[34:35], v[34:35] op_sel:[0,1]
	s_cbranch_vccnz .LBB50_28
; %bb.2:
	s_load_dwordx2 s[12:13], s[4:5], 0x0
	s_load_dwordx8 s[44:51], s[4:5], 0x50
	v_mov_b32_e32 v5, 0
	v_and_b32_e32 v4, 15, v29
	v_lshrrev_b32_e32 v28, 4, v29
	s_waitcnt lgkmcnt(0)
	s_cmpk_lg_i32 s12, 0x6f
	s_cselect_b64 s[34:35], -1, 0
	s_cmpk_lg_i32 s13, 0x6f
	s_cselect_b64 s[36:37], -1, 0
	s_lshl_b64 s[2:3], s[8:9], 3
	s_add_u32 s4, s44, s2
	s_addc_u32 s5, s45, s3
	s_cmpk_eq_i32 s13, 0x6f
	s_cselect_b32 s9, s50, s48
	s_cselect_b32 s33, s51, s49
	s_add_u32 s2, s20, s2
	s_addc_u32 s3, s21, s3
	s_cmpk_eq_i32 s12, 0x6f
	s_cselect_b32 s44, s24, s26
	s_cselect_b32 s45, s25, s27
	s_load_dwordx2 s[14:15], s[4:5], 0x0
	s_load_dwordx2 s[20:21], s[2:3], 0x0
	v_cmp_lt_u64_e64 s[4:5], v[4:5], v[8:9]
	v_cmp_lt_u64_e64 s[6:7], v[4:5], v[16:17]
	v_mul_lo_u32 v5, s45, v2
	v_mul_lo_u32 v6, s44, v3
	v_mad_u64_u32 v[2:3], s[44:45], s44, v2, 0
	v_add3_u32 v3, v3, v6, v5
	v_mad_u64_u32 v[6:7], s[44:45], s26, v28, 0
	v_mov_b32_e32 v20, v7
	v_mad_u64_u32 v[20:21], s[44:45], s27, v28, v[20:21]
	v_mov_b32_e32 v7, v20
	v_lshlrev_b64 v[2:3], 8, v[2:3]
	v_lshlrev_b64 v[6:7], 4, v[6:7]
	v_add_co_u32_e32 v5, vcc, v2, v6
	v_addc_co_u32_e32 v23, vcc, v3, v7, vcc
	v_mad_u64_u32 v[6:7], s[44:45], s24, v4, 0
	v_mov_b32_e32 v20, v7
	s_cmpk_eq_i32 s12, 0x71
	v_mad_u64_u32 v[20:21], s[44:45], s25, v4, v[20:21]
	s_cselect_b64 s[10:11], -1, 0
	s_cmpk_eq_i32 s13, 0x71
	v_mov_b32_e32 v7, v20
	s_cselect_b64 s[12:13], -1, 0
	v_lshlrev_b64 v[6:7], 4, v[6:7]
	s_lshl_b64 s[22:23], s[22:23], 4
	v_add_co_u32_e32 v5, vcc, v5, v6
	s_waitcnt lgkmcnt(0)
	s_add_u32 s44, s20, s22
	v_addc_co_u32_e32 v6, vcc, v23, v7, vcc
	s_addc_u32 s45, s21, s23
	v_mov_b32_e32 v7, s45
	v_add_co_u32_e32 v5, vcc, s44, v5
	v_addc_co_u32_e32 v6, vcc, v7, v6, vcc
	v_add_co_u32_e32 v38, vcc, 8, v5
	v_addc_co_u32_e32 v39, vcc, 0, v6, vcc
	v_mul_lo_u32 v5, s33, v0
	v_mul_lo_u32 v6, s9, v1
	v_mad_u64_u32 v[0:1], s[22:23], s9, v0, 0
	v_add3_u32 v1, v1, v6, v5
	v_mad_u64_u32 v[6:7], s[22:23], s50, v28, 0
	v_mov_b32_e32 v20, v7
	v_mad_u64_u32 v[20:21], s[22:23], s51, v28, v[20:21]
	v_mov_b32_e32 v7, v20
	v_lshlrev_b64 v[0:1], 8, v[0:1]
	v_lshlrev_b64 v[6:7], 4, v[6:7]
	v_add_co_u32_e32 v21, vcc, v0, v6
	v_addc_co_u32_e32 v23, vcc, v1, v7, vcc
	v_mad_u64_u32 v[6:7], s[22:23], s48, v4, 0
	v_mov_b32_e32 v20, v7
	v_lshl_or_b32 v22, v4, 2, v28
	v_mad_u64_u32 v[4:5], s[22:23], s49, v4, v[20:21]
	v_mov_b32_e32 v7, v4
	s_lshl_b64 s[20:21], s[26:27], 6
	v_lshlrev_b64 v[4:5], 4, v[6:7]
	s_lshl_b64 s[22:23], s[46:47], 4
	v_add_co_u32_e32 v4, vcc, v21, v4
	s_add_u32 s9, s14, s22
	v_addc_co_u32_e32 v5, vcc, v23, v5, vcc
	s_addc_u32 s33, s15, s23
	v_mov_b32_e32 v6, s33
	v_add_co_u32_e32 v4, vcc, s9, v4
	v_addc_co_u32_e32 v5, vcc, v6, v5, vcc
	v_add_co_u32_e32 v40, vcc, 8, v4
	v_addc_co_u32_e32 v41, vcc, 0, v5, vcc
	v_mad_u64_u32 v[4:5], s[14:15], s26, v18, 0
	v_mov_b32_e32 v6, v5
	v_mad_u64_u32 v[6:7], s[14:15], s27, v18, v[6:7]
	v_mov_b32_e32 v5, v6
	v_lshlrev_b64 v[4:5], 4, v[4:5]
	v_add_co_u32_e32 v6, vcc, v2, v4
	v_addc_co_u32_e32 v7, vcc, v3, v5, vcc
	v_mad_u64_u32 v[2:3], s[14:15], s24, v10, 0
	v_mov_b32_e32 v4, v3
	v_mad_u64_u32 v[4:5], s[14:15], s25, v10, v[4:5]
	v_mov_b32_e32 v3, v4
	v_lshlrev_b64 v[2:3], 4, v[2:3]
	v_add_co_u32_e32 v2, vcc, v6, v2
	v_addc_co_u32_e32 v3, vcc, v7, v3, vcc
	v_mov_b32_e32 v4, s45
	v_add_co_u32_e32 v2, vcc, s44, v2
	v_addc_co_u32_e32 v3, vcc, v4, v3, vcc
	v_add_co_u32_e32 v42, vcc, 8, v2
	v_addc_co_u32_e32 v43, vcc, 0, v3, vcc
	v_mad_u64_u32 v[2:3], s[14:15], s50, v18, 0
	v_mov_b32_e32 v4, v3
	v_mad_u64_u32 v[4:5], s[14:15], s51, v18, v[4:5]
	v_mov_b32_e32 v3, v4
	v_lshlrev_b64 v[2:3], 4, v[2:3]
	v_add_co_u32_e32 v4, vcc, v0, v2
	v_addc_co_u32_e32 v5, vcc, v1, v3, vcc
	v_mad_u64_u32 v[0:1], s[14:15], s48, v10, 0
	v_mov_b32_e32 v2, v1
	v_mad_u64_u32 v[2:3], s[14:15], s49, v10, v[2:3]
	v_mov_b32_e32 v1, v2
	v_lshlrev_b64 v[0:1], 4, v[0:1]
	v_add_co_u32_e32 v0, vcc, v4, v0
	v_addc_co_u32_e32 v1, vcc, v5, v1, vcc
	v_mov_b32_e32 v2, s33
	v_add_co_u32_e32 v0, vcc, s9, v0
	v_addc_co_u32_e32 v1, vcc, v2, v1, vcc
	v_add_co_u32_e32 v44, vcc, 8, v0
	v_mbcnt_hi_u32_b32 v0, -1, v46
	v_pk_mov_b32 v[20:21], 0, 0
	v_and_or_b32 v0, v0, 64, v22
	v_cmp_lt_u64_e64 s[2:3], v[18:19], v[8:9]
	s_lshl_b64 s[22:23], s[50:51], 6
	s_lshl_b64 s[24:25], s[24:25], 6
	v_addc_co_u32_e32 v45, vcc, 0, v1, vcc
	s_lshl_b64 s[26:27], s[48:49], 6
	v_lshlrev_b32_e32 v47, 2, v0
	v_pk_mov_b32 v[24:25], v[20:21], v[20:21] op_sel:[0,1]
	v_pk_mov_b32 v[30:31], v[20:21], v[20:21] op_sel:[0,1]
	;; [unrolled: 1-line block ×7, first 2 shown]
	s_branch .LBB50_6
.LBB50_3:                               ;   in Loop: Header=BB50_6 Depth=1
	s_or_b64 exec, exec, s[44:45]
.LBB50_4:                               ;   in Loop: Header=BB50_6 Depth=1
	s_or_b64 exec, exec, s[14:15]
	s_waitcnt vmcnt(0)
	ds_bpermute_b32 v4, v47, v4
	ds_bpermute_b32 v5, v47, v5
	;; [unrolled: 1-line block ×4, first 2 shown]
.LBB50_5:                               ;   in Loop: Header=BB50_6 Depth=1
	s_waitcnt vmcnt(0) lgkmcnt(0)
	v_xor_b32_e32 v48, 0x80000000, v3
	v_cndmask_b32_e64 v3, v3, v48, s[10:11]
	v_cndmask_b32_e64 v2, v2, v2, s[10:11]
	v_xor_b32_e32 v48, 0x80000000, v7
	v_cndmask_b32_e64 v7, v7, v48, s[12:13]
	v_cndmask_b32_e64 v6, v6, v6, s[12:13]
	v_mfma_f64_16x16x4f64 v[48:55], v[0:1], v[4:5], 0
	s_add_u32 s18, s18, 4
	s_addc_u32 s19, s19, 0
	v_add_co_u32_e64 v38, s[14:15], s20, v38
	v_mfma_f64_16x16x4f64 v[56:63], v[2:3], v[6:7], 0
	s_nop 7
	s_nop 2
	v_add_f64 v[54:55], v[54:55], -v[62:63]
	v_pk_mov_b32 v[62:63], s[16:17], s[16:17] op_sel:[0,1]
	v_cmp_ge_i64_e32 vcc, s[18:19], v[62:63]
	v_mfma_f64_16x16x4f64 v[62:69], v[0:1], v[6:7], 0
	s_and_b64 vcc, exec, vcc
	v_add_f64 v[52:53], v[52:53], -v[60:61]
	v_add_f64 v[50:51], v[50:51], -v[58:59]
	;; [unrolled: 1-line block ×3, first 2 shown]
	v_add_f64 v[34:35], v[34:35], v[48:49]
	v_add_f64 v[32:33], v[32:33], v[50:51]
	;; [unrolled: 1-line block ×4, first 2 shown]
	v_mfma_f64_16x16x4f64 v[0:7], v[2:3], v[4:5], 0
	s_nop 7
	s_nop 2
	v_add_f64 v[0:1], v[62:63], v[0:1]
	v_add_f64 v[36:37], v[36:37], v[0:1]
	v_mov_b32_e32 v0, s21
	v_addc_co_u32_e64 v39, s[14:15], v39, v0, s[14:15]
	v_mov_b32_e32 v0, s23
	v_add_co_u32_e64 v40, s[14:15], s22, v40
	v_addc_co_u32_e64 v41, s[14:15], v41, v0, s[14:15]
	v_mov_b32_e32 v0, s25
	v_add_co_u32_e64 v42, s[14:15], s24, v42
	v_addc_co_u32_e64 v43, s[14:15], v43, v0, s[14:15]
	v_add_f64 v[6:7], v[68:69], v[6:7]
	v_add_f64 v[4:5], v[66:67], v[4:5]
	v_add_f64 v[2:3], v[64:65], v[2:3]
	v_mov_b32_e32 v0, s27
	v_add_co_u32_e64 v44, s[14:15], s26, v44
	v_add_f64 v[30:31], v[30:31], v[2:3]
	v_add_f64 v[24:25], v[24:25], v[4:5]
	;; [unrolled: 1-line block ×3, first 2 shown]
	v_addc_co_u32_e64 v45, s[14:15], v45, v0, s[14:15]
	s_cbranch_vccnz .LBB50_28
.LBB50_6:                               ; =>This Inner Loop Header: Depth=1
	s_and_b64 vcc, exec, s[34:35]
	s_cbranch_vccz .LBB50_18
; %bb.7:                                ;   in Loop: Header=BB50_6 Depth=1
	v_pk_mov_b32 v[0:1], 0, 0
	s_mov_b64 s[14:15], 0
	v_pk_mov_b32 v[2:3], v[0:1], v[0:1] op_sel:[0,1]
	s_and_saveexec_b64 s[44:45], s[2:3]
	s_cbranch_execz .LBB50_11
; %bb.8:                                ;   in Loop: Header=BB50_6 Depth=1
	v_mov_b32_e32 v1, s19
	v_add_co_u32_e32 v0, vcc, s18, v10
	v_addc_co_u32_e32 v1, vcc, 0, v1, vcc
	v_pk_mov_b32 v[2:3], 0, 0
	v_cmp_gt_i64_e32 vcc, s[16:17], v[0:1]
	v_pk_mov_b32 v[0:1], v[2:3], v[2:3] op_sel:[0,1]
	s_and_saveexec_b64 s[46:47], vcc
	s_cbranch_execz .LBB50_10
; %bb.9:                                ;   in Loop: Header=BB50_6 Depth=1
	global_load_dwordx4 v[0:3], v[42:43], off offset:-8
.LBB50_10:                              ;   in Loop: Header=BB50_6 Depth=1
	s_or_b64 exec, exec, s[46:47]
.LBB50_11:                              ;   in Loop: Header=BB50_6 Depth=1
	s_or_b64 exec, exec, s[44:45]
	s_waitcnt vmcnt(0)
	ds_bpermute_b32 v0, v47, v0
	ds_bpermute_b32 v1, v47, v1
	;; [unrolled: 1-line block ×4, first 2 shown]
	s_and_b64 vcc, exec, s[14:15]
	s_cbranch_vccnz .LBB50_19
.LBB50_12:                              ;   in Loop: Header=BB50_6 Depth=1
	s_and_b64 vcc, exec, s[36:37]
	s_cbranch_vccz .LBB50_24
.LBB50_13:                              ;   in Loop: Header=BB50_6 Depth=1
	v_pk_mov_b32 v[6:7], 0, 0
	s_mov_b64 s[14:15], 0
	v_pk_mov_b32 v[4:5], v[6:7], v[6:7] op_sel:[0,1]
	s_and_saveexec_b64 s[44:45], s[6:7]
	s_cbranch_execz .LBB50_17
; %bb.14:                               ;   in Loop: Header=BB50_6 Depth=1
	v_mov_b32_e32 v5, s19
	v_add_co_u32_e32 v4, vcc, s18, v28
	v_addc_co_u32_e32 v5, vcc, 0, v5, vcc
	v_pk_mov_b32 v[6:7], 0, 0
	v_cmp_gt_i64_e32 vcc, s[16:17], v[4:5]
	v_pk_mov_b32 v[4:5], v[6:7], v[6:7] op_sel:[0,1]
	s_and_saveexec_b64 s[46:47], vcc
	s_cbranch_execz .LBB50_16
; %bb.15:                               ;   in Loop: Header=BB50_6 Depth=1
	global_load_dwordx4 v[4:7], v[40:41], off offset:-8
.LBB50_16:                              ;   in Loop: Header=BB50_6 Depth=1
	s_or_b64 exec, exec, s[46:47]
.LBB50_17:                              ;   in Loop: Header=BB50_6 Depth=1
	s_or_b64 exec, exec, s[44:45]
	s_andn2_b64 vcc, exec, s[14:15]
	s_cbranch_vccnz .LBB50_5
	s_branch .LBB50_25
.LBB50_18:                              ;   in Loop: Header=BB50_6 Depth=1
                                        ; implicit-def: $vgpr2_vgpr3
	s_cbranch_execz .LBB50_12
.LBB50_19:                              ;   in Loop: Header=BB50_6 Depth=1
	s_waitcnt lgkmcnt(0)
	v_pk_mov_b32 v[2:3], 0, 0
	v_pk_mov_b32 v[0:1], v[2:3], v[2:3] op_sel:[0,1]
	s_and_saveexec_b64 s[14:15], s[4:5]
	s_cbranch_execz .LBB50_23
; %bb.20:                               ;   in Loop: Header=BB50_6 Depth=1
	v_mov_b32_e32 v1, s19
	v_add_co_u32_e32 v0, vcc, s18, v28
	v_addc_co_u32_e32 v1, vcc, 0, v1, vcc
	v_pk_mov_b32 v[2:3], 0, 0
	v_cmp_gt_i64_e32 vcc, s[16:17], v[0:1]
	v_pk_mov_b32 v[0:1], v[2:3], v[2:3] op_sel:[0,1]
	s_and_saveexec_b64 s[44:45], vcc
	s_cbranch_execz .LBB50_22
; %bb.21:                               ;   in Loop: Header=BB50_6 Depth=1
	global_load_dwordx4 v[0:3], v[38:39], off offset:-8
.LBB50_22:                              ;   in Loop: Header=BB50_6 Depth=1
	s_or_b64 exec, exec, s[44:45]
.LBB50_23:                              ;   in Loop: Header=BB50_6 Depth=1
	s_or_b64 exec, exec, s[14:15]
	s_and_b64 vcc, exec, s[36:37]
	s_cbranch_vccnz .LBB50_13
.LBB50_24:                              ;   in Loop: Header=BB50_6 Depth=1
                                        ; implicit-def: $vgpr6_vgpr7
.LBB50_25:                              ;   in Loop: Header=BB50_6 Depth=1
	s_waitcnt vmcnt(0)
	v_pk_mov_b32 v[4:5], 0, 0
	v_pk_mov_b32 v[6:7], v[4:5], v[4:5] op_sel:[0,1]
	s_and_saveexec_b64 s[14:15], s[0:1]
	s_cbranch_execz .LBB50_4
; %bb.26:                               ;   in Loop: Header=BB50_6 Depth=1
	v_mov_b32_e32 v5, s19
	v_add_co_u32_e32 v4, vcc, s18, v10
	v_addc_co_u32_e32 v5, vcc, 0, v5, vcc
	v_pk_mov_b32 v[6:7], 0, 0
	v_cmp_gt_i64_e32 vcc, s[16:17], v[4:5]
	v_pk_mov_b32 v[4:5], v[6:7], v[6:7] op_sel:[0,1]
	s_and_saveexec_b64 s[44:45], vcc
	s_cbranch_execz .LBB50_3
; %bb.27:                               ;   in Loop: Header=BB50_6 Depth=1
	global_load_dwordx4 v[4:7], v[44:45], off offset:-8
	s_branch .LBB50_3
.LBB50_28:
	s_mul_i32 s0, s8, s59
	s_mul_hi_u32 s1, s8, s58
	s_add_i32 s1, s1, s0
	s_mul_i32 s0, s8, s58
	s_lshl_b64 s[0:1], s[0:1], 4
	s_add_u32 s2, s38, s0
	s_addc_u32 s3, s39, s1
	s_lshl_b64 s[0:1], s[40:41], 4
	s_add_u32 s2, s2, s0
	s_addc_u32 s3, s3, s1
	v_mul_lo_u32 v2, v15, s56
	v_mul_lo_u32 v3, v14, s57
	v_mad_u64_u32 v[0:1], s[0:1], v14, s56, 0
	v_add3_u32 v1, v1, v3, v2
	v_mul_lo_u32 v4, v13, s42
	v_mul_lo_u32 v5, v12, s43
	v_mad_u64_u32 v[2:3], s[0:1], v12, s42, 0
	v_lshlrev_b64 v[0:1], 4, v[0:1]
	v_add3_u32 v3, v3, v5, v4
	v_mov_b32_e32 v4, s3
	v_add_co_u32_e32 v5, vcc, s2, v0
	v_addc_co_u32_e32 v4, vcc, v4, v1, vcc
	v_lshlrev_b64 v[0:1], 4, v[2:3]
	v_add_co_u32_e32 v6, vcc, v5, v0
	v_lshl_or_b32 v0, v29, 4, v18
	v_addc_co_u32_e32 v7, vcc, v4, v1, vcc
	v_mbcnt_hi_u32_b32 v1, -1, v46
	v_and_b32_e32 v0, 63, v0
	v_and_or_b32 v0, v1, 64, v0
	v_lshlrev_b32_e32 v12, 2, v0
	v_mad_u64_u32 v[0:1], s[0:1], v18, s56, 0
	v_mov_b32_e32 v2, v1
	v_mad_u64_u32 v[2:3], s[0:1], v18, s57, v[2:3]
	v_mov_b32_e32 v1, v2
	v_lshlrev_b64 v[4:5], 4, v[0:1]
	ds_bpermute_b32 v0, v12, v34
	ds_bpermute_b32 v1, v12, v35
	;; [unrolled: 1-line block ×4, first 2 shown]
	v_add_co_u32_e64 v6, s[0:1], v6, v4
	v_addc_co_u32_e64 v7, s[0:1], v7, v5, s[0:1]
	v_cmp_lt_u64_e32 vcc, v[18:19], v[16:17]
	v_cmp_lt_u64_e64 s[0:1], v[10:11], v[8:9]
	s_and_b64 s[0:1], vcc, s[0:1]
	s_and_saveexec_b64 s[2:3], s[0:1]
	s_cbranch_execz .LBB50_30
; %bb.29:
	v_mad_u64_u32 v[4:5], s[0:1], v10, s42, 0
	v_mov_b32_e32 v14, v5
	v_mad_u64_u32 v[14:15], s[0:1], v10, s43, v[14:15]
	v_mov_b32_e32 v5, v14
	v_lshlrev_b64 v[4:5], 4, v[4:5]
	v_add_co_u32_e64 v4, s[0:1], v6, v4
	v_addc_co_u32_e64 v5, s[0:1], v7, v5, s[0:1]
	global_load_dwordx4 v[14:17], v[4:5], off
	s_waitcnt lgkmcnt(0)
	v_mul_f64 v[18:19], s[54:55], v[2:3]
	v_mul_f64 v[2:3], s[52:53], v[2:3]
	v_fma_f64 v[18:19], s[52:53], v[0:1], -v[18:19]
	v_fmac_f64_e32 v[2:3], s[54:55], v[0:1]
	s_waitcnt vmcnt(0)
	v_mul_f64 v[0:1], s[30:31], v[16:17]
	v_mul_f64 v[16:17], s[28:29], v[16:17]
	v_fma_f64 v[0:1], s[28:29], v[14:15], -v[0:1]
	v_fmac_f64_e32 v[16:17], s[30:31], v[14:15]
	v_add_f64 v[0:1], v[18:19], v[0:1]
	v_add_f64 v[2:3], v[2:3], v[16:17]
	global_store_dwordx4 v[4:5], v[0:3], off
.LBB50_30:
	s_or_b64 exec, exec, s[2:3]
	s_waitcnt lgkmcnt(0)
	ds_bpermute_b32 v0, v12, v32
	ds_bpermute_b32 v1, v12, v33
	;; [unrolled: 1-line block ×4, first 2 shown]
	v_or_b32_e32 v4, 4, v10
	v_mov_b32_e32 v5, v11
	v_cmp_lt_u64_e64 s[0:1], v[4:5], v[8:9]
	s_and_b64 s[0:1], vcc, s[0:1]
	s_and_saveexec_b64 s[2:3], s[0:1]
	s_cbranch_execz .LBB50_32
; %bb.31:
	v_mad_u64_u32 v[14:15], s[0:1], v4, s42, 0
	v_mov_b32_e32 v16, v15
	v_mad_u64_u32 v[4:5], s[0:1], v4, s43, v[16:17]
	v_mov_b32_e32 v15, v4
	v_lshlrev_b64 v[4:5], 4, v[14:15]
	v_add_co_u32_e64 v4, s[0:1], v6, v4
	v_addc_co_u32_e64 v5, s[0:1], v7, v5, s[0:1]
	global_load_dwordx4 v[14:17], v[4:5], off
	s_waitcnt lgkmcnt(0)
	v_mul_f64 v[18:19], s[54:55], v[2:3]
	v_mul_f64 v[2:3], s[52:53], v[2:3]
	v_fma_f64 v[18:19], s[52:53], v[0:1], -v[18:19]
	v_fmac_f64_e32 v[2:3], s[54:55], v[0:1]
	s_waitcnt vmcnt(0)
	v_mul_f64 v[0:1], s[30:31], v[16:17]
	v_mul_f64 v[16:17], s[28:29], v[16:17]
	v_fma_f64 v[0:1], s[28:29], v[14:15], -v[0:1]
	v_fmac_f64_e32 v[16:17], s[30:31], v[14:15]
	v_add_f64 v[0:1], v[18:19], v[0:1]
	v_add_f64 v[2:3], v[2:3], v[16:17]
	global_store_dwordx4 v[4:5], v[0:3], off
.LBB50_32:
	s_or_b64 exec, exec, s[2:3]
	s_waitcnt lgkmcnt(3)
	ds_bpermute_b32 v0, v12, v26
	s_waitcnt lgkmcnt(3)
	ds_bpermute_b32 v1, v12, v27
	;; [unrolled: 2-line block ×4, first 2 shown]
	v_or_b32_e32 v4, 8, v10
	v_mov_b32_e32 v5, v11
	v_cmp_lt_u64_e64 s[0:1], v[4:5], v[8:9]
	s_and_b64 s[0:1], vcc, s[0:1]
	s_and_saveexec_b64 s[2:3], s[0:1]
	s_cbranch_execz .LBB50_34
; %bb.33:
	v_mad_u64_u32 v[14:15], s[0:1], v4, s42, 0
	v_mov_b32_e32 v16, v15
	v_mad_u64_u32 v[4:5], s[0:1], v4, s43, v[16:17]
	v_mov_b32_e32 v15, v4
	v_lshlrev_b64 v[4:5], 4, v[14:15]
	v_add_co_u32_e64 v4, s[0:1], v6, v4
	v_addc_co_u32_e64 v5, s[0:1], v7, v5, s[0:1]
	global_load_dwordx4 v[14:17], v[4:5], off
	s_waitcnt lgkmcnt(0)
	v_mul_f64 v[18:19], s[54:55], v[2:3]
	v_mul_f64 v[2:3], s[52:53], v[2:3]
	v_fma_f64 v[18:19], s[52:53], v[0:1], -v[18:19]
	v_fmac_f64_e32 v[2:3], s[54:55], v[0:1]
	s_waitcnt vmcnt(0)
	v_mul_f64 v[0:1], s[30:31], v[16:17]
	v_mul_f64 v[16:17], s[28:29], v[16:17]
	v_fma_f64 v[0:1], s[28:29], v[14:15], -v[0:1]
	v_fmac_f64_e32 v[16:17], s[30:31], v[14:15]
	v_add_f64 v[0:1], v[18:19], v[0:1]
	v_add_f64 v[2:3], v[2:3], v[16:17]
	global_store_dwordx4 v[4:5], v[0:3], off
.LBB50_34:
	s_or_b64 exec, exec, s[2:3]
	s_waitcnt lgkmcnt(3)
	ds_bpermute_b32 v0, v12, v22
	s_waitcnt lgkmcnt(3)
	ds_bpermute_b32 v1, v12, v23
	;; [unrolled: 2-line block ×4, first 2 shown]
	v_or_b32_e32 v10, 12, v10
	v_cmp_lt_u64_e64 s[0:1], v[10:11], v[8:9]
	s_and_b64 s[0:1], vcc, s[0:1]
	s_and_b64 exec, exec, s[0:1]
	s_cbranch_execz .LBB50_36
; %bb.35:
	v_mad_u64_u32 v[4:5], s[0:1], v10, s42, 0
	v_mov_b32_e32 v8, v5
	v_mad_u64_u32 v[8:9], s[0:1], v10, s43, v[8:9]
	v_mov_b32_e32 v5, v8
	v_lshlrev_b64 v[4:5], 4, v[4:5]
	v_add_co_u32_e32 v8, vcc, v6, v4
	v_addc_co_u32_e32 v9, vcc, v7, v5, vcc
	global_load_dwordx4 v[4:7], v[8:9], off
	s_waitcnt lgkmcnt(0)
	v_mul_f64 v[10:11], s[54:55], v[2:3]
	v_mul_f64 v[2:3], s[52:53], v[2:3]
	v_fma_f64 v[10:11], s[52:53], v[0:1], -v[10:11]
	v_fmac_f64_e32 v[2:3], s[54:55], v[0:1]
	s_waitcnt vmcnt(0)
	v_mul_f64 v[0:1], s[30:31], v[6:7]
	v_mul_f64 v[6:7], s[28:29], v[6:7]
	v_fma_f64 v[0:1], s[28:29], v[4:5], -v[0:1]
	v_fmac_f64_e32 v[6:7], s[30:31], v[4:5]
	v_add_f64 v[0:1], v[10:11], v[0:1]
	v_add_f64 v[2:3], v[2:3], v[6:7]
	global_store_dwordx4 v[8:9], v[0:3], off
.LBB50_36:
	s_endpgm
	.section	.rodata,"a",@progbits
	.p2align	6, 0x0
	.amdhsa_kernel _ZN9rocsolver6v33100L16mfma_gemm_kernelI19rocblas_complex_numIdElPKS3_PKPS3_S8_S6_EEv18rocblas_operation_S9_T0_SA_SA_T1_T2_lSA_SA_lT3_lSA_SA_lSB_T4_lSA_SA_l
		.amdhsa_group_segment_fixed_size 0
		.amdhsa_private_segment_fixed_size 0
		.amdhsa_kernarg_size 424
		.amdhsa_user_sgpr_count 6
		.amdhsa_user_sgpr_private_segment_buffer 1
		.amdhsa_user_sgpr_dispatch_ptr 0
		.amdhsa_user_sgpr_queue_ptr 0
		.amdhsa_user_sgpr_kernarg_segment_ptr 1
		.amdhsa_user_sgpr_dispatch_id 0
		.amdhsa_user_sgpr_flat_scratch_init 0
		.amdhsa_user_sgpr_kernarg_preload_length 0
		.amdhsa_user_sgpr_kernarg_preload_offset 0
		.amdhsa_user_sgpr_private_segment_size 0
		.amdhsa_uses_dynamic_stack 0
		.amdhsa_system_sgpr_private_segment_wavefront_offset 0
		.amdhsa_system_sgpr_workgroup_id_x 1
		.amdhsa_system_sgpr_workgroup_id_y 1
		.amdhsa_system_sgpr_workgroup_id_z 1
		.amdhsa_system_sgpr_workgroup_info 0
		.amdhsa_system_vgpr_workitem_id 1
		.amdhsa_next_free_vgpr 70
		.amdhsa_next_free_sgpr 60
		.amdhsa_accum_offset 72
		.amdhsa_reserve_vcc 1
		.amdhsa_reserve_flat_scratch 0
		.amdhsa_float_round_mode_32 0
		.amdhsa_float_round_mode_16_64 0
		.amdhsa_float_denorm_mode_32 3
		.amdhsa_float_denorm_mode_16_64 3
		.amdhsa_dx10_clamp 1
		.amdhsa_ieee_mode 1
		.amdhsa_fp16_overflow 0
		.amdhsa_tg_split 0
		.amdhsa_exception_fp_ieee_invalid_op 0
		.amdhsa_exception_fp_denorm_src 0
		.amdhsa_exception_fp_ieee_div_zero 0
		.amdhsa_exception_fp_ieee_overflow 0
		.amdhsa_exception_fp_ieee_underflow 0
		.amdhsa_exception_fp_ieee_inexact 0
		.amdhsa_exception_int_div_zero 0
	.end_amdhsa_kernel
	.section	.text._ZN9rocsolver6v33100L16mfma_gemm_kernelI19rocblas_complex_numIdElPKS3_PKPS3_S8_S6_EEv18rocblas_operation_S9_T0_SA_SA_T1_T2_lSA_SA_lT3_lSA_SA_lSB_T4_lSA_SA_l,"axG",@progbits,_ZN9rocsolver6v33100L16mfma_gemm_kernelI19rocblas_complex_numIdElPKS3_PKPS3_S8_S6_EEv18rocblas_operation_S9_T0_SA_SA_T1_T2_lSA_SA_lT3_lSA_SA_lSB_T4_lSA_SA_l,comdat
.Lfunc_end50:
	.size	_ZN9rocsolver6v33100L16mfma_gemm_kernelI19rocblas_complex_numIdElPKS3_PKPS3_S8_S6_EEv18rocblas_operation_S9_T0_SA_SA_T1_T2_lSA_SA_lT3_lSA_SA_lSB_T4_lSA_SA_l, .Lfunc_end50-_ZN9rocsolver6v33100L16mfma_gemm_kernelI19rocblas_complex_numIdElPKS3_PKPS3_S8_S6_EEv18rocblas_operation_S9_T0_SA_SA_T1_T2_lSA_SA_lT3_lSA_SA_lSB_T4_lSA_SA_l
                                        ; -- End function
	.section	.AMDGPU.csdata,"",@progbits
; Kernel info:
; codeLenInByte = 2976
; NumSgprs: 64
; NumVgprs: 70
; NumAgprs: 0
; TotalNumVgprs: 70
; ScratchSize: 0
; MemoryBound: 1
; FloatMode: 240
; IeeeMode: 1
; LDSByteSize: 0 bytes/workgroup (compile time only)
; SGPRBlocks: 7
; VGPRBlocks: 8
; NumSGPRsForWavesPerEU: 64
; NumVGPRsForWavesPerEU: 70
; AccumOffset: 72
; Occupancy: 7
; WaveLimiterHint : 1
; COMPUTE_PGM_RSRC2:SCRATCH_EN: 0
; COMPUTE_PGM_RSRC2:USER_SGPR: 6
; COMPUTE_PGM_RSRC2:TRAP_HANDLER: 0
; COMPUTE_PGM_RSRC2:TGID_X_EN: 1
; COMPUTE_PGM_RSRC2:TGID_Y_EN: 1
; COMPUTE_PGM_RSRC2:TGID_Z_EN: 1
; COMPUTE_PGM_RSRC2:TIDIG_COMP_CNT: 1
; COMPUTE_PGM_RSRC3_GFX90A:ACCUM_OFFSET: 17
; COMPUTE_PGM_RSRC3_GFX90A:TG_SPLIT: 0
	.section	.text._ZN9rocsolver6v33100L16mfma_gemm_kernelI19rocblas_complex_numIdElS3_PKPS3_S6_S4_EEv18rocblas_operation_S7_T0_S8_S8_T1_T2_lS8_S8_lT3_lS8_S8_lS9_T4_lS8_S8_l,"axG",@progbits,_ZN9rocsolver6v33100L16mfma_gemm_kernelI19rocblas_complex_numIdElS3_PKPS3_S6_S4_EEv18rocblas_operation_S7_T0_S8_S8_T1_T2_lS8_S8_lT3_lS8_S8_lS9_T4_lS8_S8_l,comdat
	.globl	_ZN9rocsolver6v33100L16mfma_gemm_kernelI19rocblas_complex_numIdElS3_PKPS3_S6_S4_EEv18rocblas_operation_S7_T0_S8_S8_T1_T2_lS8_S8_lT3_lS8_S8_lS9_T4_lS8_S8_l ; -- Begin function _ZN9rocsolver6v33100L16mfma_gemm_kernelI19rocblas_complex_numIdElS3_PKPS3_S6_S4_EEv18rocblas_operation_S7_T0_S8_S8_T1_T2_lS8_S8_lT3_lS8_S8_lS9_T4_lS8_S8_l
	.p2align	8
	.type	_ZN9rocsolver6v33100L16mfma_gemm_kernelI19rocblas_complex_numIdElS3_PKPS3_S6_S4_EEv18rocblas_operation_S7_T0_S8_S8_T1_T2_lS8_S8_lT3_lS8_S8_lS9_T4_lS8_S8_l,@function
_ZN9rocsolver6v33100L16mfma_gemm_kernelI19rocblas_complex_numIdElS3_PKPS3_S6_S4_EEv18rocblas_operation_S7_T0_S8_S8_T1_T2_lS8_S8_lT3_lS8_S8_lS9_T4_lS8_S8_l: ; @_ZN9rocsolver6v33100L16mfma_gemm_kernelI19rocblas_complex_numIdElS3_PKPS3_S6_S4_EEv18rocblas_operation_S7_T0_S8_S8_T1_T2_lS8_S8_lT3_lS8_S8_lS9_T4_lS8_S8_l
; %bb.0:
	s_load_dword s0, s[4:5], 0xc4
	s_load_dwordx16 s[12:27], s[4:5], 0x8
	v_and_b32_e32 v4, 0x3ff, v0
	v_mov_b32_e32 v9, 0
	v_lshrrev_b32_e32 v8, 6, v4
	s_waitcnt lgkmcnt(0)
	s_lshr_b32 s2, s0, 16
	s_bfe_u32 s0, s0, 0xa0006
	v_bfe_u32 v0, v0, 10, 10
	v_mov_b32_e32 v1, v9
	v_mov_b32_e32 v2, s6
	v_mov_b32_e32 v5, s7
	v_mad_u64_u32 v[2:3], s[0:1], s0, v2, v[8:9]
	v_mad_u64_u32 v[0:1], s[0:1], s2, v5, v[0:1]
	v_lshlrev_b64 v[12:13], 4, v[2:3]
	v_lshlrev_b64 v[16:17], 4, v[0:1]
	v_cmp_gt_i64_e32 vcc, s[12:13], v[12:13]
	v_cmp_gt_i64_e64 s[0:1], s[14:15], v[16:17]
	s_and_b64 s[0:1], vcc, s[0:1]
	s_and_saveexec_b64 s[2:3], s[0:1]
	s_cbranch_execz .LBB51_36
; %bb.1:
	v_add_co_u32_e32 v6, vcc, 16, v12
	v_addc_co_u32_e32 v7, vcc, 0, v13, vcc
	s_and_b32 s0, s12, 15
	s_load_dwordx8 s[36:43], s[4:5], 0x80
	s_load_dwordx4 s[28:31], s[4:5], 0xa0
	s_load_dwordx2 s[34:35], s[4:5], 0xb0
	v_mov_b32_e32 v5, s0
	v_cmp_lt_u64_e32 vcc, s[12:13], v[6:7]
	v_cndmask_b32_e32 v8, 16, v5, vcc
	v_add_co_u32_e32 v6, vcc, 16, v16
	v_addc_co_u32_e32 v7, vcc, 0, v17, vcc
	s_and_b32 s0, s14, 15
	v_mov_b32_e32 v5, s0
	v_cmp_lt_u64_e32 vcc, s[14:15], v[6:7]
	v_cndmask_b32_e32 v14, 16, v5, vcc
	v_mov_b32_e32 v15, v9
	v_bfe_u32 v18, v4, 2, 4
	v_mov_b32_e32 v19, v9
	v_cmp_lt_i64_e64 s[0:1], s[16:17], 1
	v_pk_mov_b32 v[34:35], 0, 0
	s_mov_b32 s9, 0
	v_and_b32_e32 v46, 63, v4
	v_and_b32_e32 v10, 3, v4
	v_mov_b32_e32 v11, v9
	s_mov_b64 s[52:53], 0
	s_and_b64 vcc, exec, s[0:1]
	v_cmp_lt_u64_e64 s[0:1], v[18:19], v[14:15]
	v_mbcnt_lo_u32_b32 v31, -1, 0
	v_pk_mov_b32 v[36:37], v[34:35], v[34:35] op_sel:[0,1]
	v_pk_mov_b32 v[20:21], v[34:35], v[34:35] op_sel:[0,1]
	;; [unrolled: 1-line block ×7, first 2 shown]
	s_cbranch_vccnz .LBB51_28
; %bb.2:
	s_load_dwordx2 s[12:13], s[4:5], 0x0
	s_load_dwordx8 s[44:51], s[4:5], 0x58
	s_load_dwordx2 s[14:15], s[4:5], 0x48
	v_mov_b32_e32 v5, 0
	v_and_b32_e32 v4, 15, v46
	s_waitcnt lgkmcnt(0)
	s_cmpk_lg_i32 s12, 0x6f
	s_cselect_b64 s[54:55], -1, 0
	s_cmpk_lg_i32 s13, 0x6f
	s_cselect_b64 s[56:57], -1, 0
	s_lshl_b64 s[2:3], s[8:9], 3
	s_add_u32 s4, s44, s2
	s_addc_u32 s5, s45, s3
	s_cmpk_eq_i32 s13, 0x6f
	s_cselect_b32 s9, s50, s48
	s_cselect_b32 s33, s51, s49
	s_add_u32 s2, s22, s2
	s_addc_u32 s3, s23, s3
	s_cmpk_eq_i32 s12, 0x6f
	s_cselect_b32 s58, s26, s14
	s_cselect_b32 s59, s27, s15
	v_lshrrev_b32_e32 v30, 4, v46
	s_load_dwordx2 s[44:45], s[4:5], 0x0
	s_load_dwordx2 s[22:23], s[2:3], 0x0
	v_cmp_lt_u64_e64 s[4:5], v[4:5], v[8:9]
	v_cmp_lt_u64_e64 s[6:7], v[4:5], v[14:15]
	v_mul_lo_u32 v5, s59, v2
	v_mul_lo_u32 v6, s58, v3
	v_mad_u64_u32 v[2:3], s[58:59], s58, v2, 0
	v_add3_u32 v3, v3, v6, v5
	v_mad_u64_u32 v[6:7], s[58:59], s14, v30, 0
	v_mov_b32_e32 v20, v7
	v_mad_u64_u32 v[20:21], s[58:59], s15, v30, v[20:21]
	v_mov_b32_e32 v7, v20
	v_lshlrev_b64 v[2:3], 8, v[2:3]
	v_lshlrev_b64 v[6:7], 4, v[6:7]
	v_add_co_u32_e32 v5, vcc, v2, v6
	v_addc_co_u32_e32 v23, vcc, v3, v7, vcc
	v_mad_u64_u32 v[6:7], s[58:59], s26, v4, 0
	v_mov_b32_e32 v20, v7
	s_cmpk_eq_i32 s12, 0x71
	v_mad_u64_u32 v[20:21], s[58:59], s27, v4, v[20:21]
	s_cselect_b64 s[10:11], -1, 0
	s_cmpk_eq_i32 s13, 0x71
	v_mov_b32_e32 v7, v20
	s_cselect_b64 s[12:13], -1, 0
	v_lshlrev_b64 v[6:7], 4, v[6:7]
	s_lshl_b64 s[24:25], s[24:25], 4
	v_add_co_u32_e32 v5, vcc, v5, v6
	s_waitcnt lgkmcnt(0)
	s_add_u32 s58, s22, s24
	v_addc_co_u32_e32 v6, vcc, v23, v7, vcc
	s_addc_u32 s59, s23, s25
	v_mov_b32_e32 v7, s59
	v_add_co_u32_e32 v5, vcc, s58, v5
	v_addc_co_u32_e32 v6, vcc, v7, v6, vcc
	v_add_co_u32_e32 v38, vcc, 8, v5
	v_addc_co_u32_e32 v39, vcc, 0, v6, vcc
	v_mul_lo_u32 v5, s33, v0
	v_mul_lo_u32 v6, s9, v1
	v_mad_u64_u32 v[0:1], s[24:25], s9, v0, 0
	v_add3_u32 v1, v1, v6, v5
	v_mad_u64_u32 v[6:7], s[24:25], s50, v30, 0
	v_mov_b32_e32 v20, v7
	v_mad_u64_u32 v[20:21], s[24:25], s51, v30, v[20:21]
	v_mov_b32_e32 v7, v20
	v_lshlrev_b64 v[0:1], 8, v[0:1]
	v_lshlrev_b64 v[6:7], 4, v[6:7]
	v_add_co_u32_e32 v21, vcc, v0, v6
	v_addc_co_u32_e32 v23, vcc, v1, v7, vcc
	v_mad_u64_u32 v[6:7], s[24:25], s48, v4, 0
	v_mov_b32_e32 v20, v7
	v_lshl_or_b32 v22, v4, 2, v30
	v_mad_u64_u32 v[4:5], s[24:25], s49, v4, v[20:21]
	v_mov_b32_e32 v7, v4
	s_lshl_b64 s[22:23], s[14:15], 6
	v_lshlrev_b64 v[4:5], 4, v[6:7]
	s_lshl_b64 s[24:25], s[46:47], 4
	v_add_co_u32_e32 v4, vcc, v21, v4
	s_add_u32 s9, s44, s24
	v_addc_co_u32_e32 v5, vcc, v23, v5, vcc
	s_addc_u32 s33, s45, s25
	v_mov_b32_e32 v6, s33
	v_add_co_u32_e32 v4, vcc, s9, v4
	v_addc_co_u32_e32 v5, vcc, v6, v5, vcc
	v_add_co_u32_e32 v40, vcc, 8, v4
	v_addc_co_u32_e32 v41, vcc, 0, v5, vcc
	v_mad_u64_u32 v[4:5], s[44:45], s14, v18, 0
	v_mov_b32_e32 v6, v5
	v_mad_u64_u32 v[6:7], s[14:15], s15, v18, v[6:7]
	v_mov_b32_e32 v5, v6
	v_lshlrev_b64 v[4:5], 4, v[4:5]
	v_add_co_u32_e32 v6, vcc, v2, v4
	v_addc_co_u32_e32 v7, vcc, v3, v5, vcc
	v_mad_u64_u32 v[2:3], s[14:15], s26, v10, 0
	v_mov_b32_e32 v4, v3
	v_mad_u64_u32 v[4:5], s[14:15], s27, v10, v[4:5]
	v_mov_b32_e32 v3, v4
	v_lshlrev_b64 v[2:3], 4, v[2:3]
	v_add_co_u32_e32 v2, vcc, v6, v2
	v_addc_co_u32_e32 v3, vcc, v7, v3, vcc
	v_mov_b32_e32 v4, s59
	v_add_co_u32_e32 v2, vcc, s58, v2
	v_addc_co_u32_e32 v3, vcc, v4, v3, vcc
	v_add_co_u32_e32 v42, vcc, 8, v2
	v_addc_co_u32_e32 v43, vcc, 0, v3, vcc
	v_mad_u64_u32 v[2:3], s[14:15], s50, v18, 0
	v_mov_b32_e32 v4, v3
	v_mad_u64_u32 v[4:5], s[14:15], s51, v18, v[4:5]
	v_mov_b32_e32 v3, v4
	v_lshlrev_b64 v[2:3], 4, v[2:3]
	v_add_co_u32_e32 v4, vcc, v0, v2
	v_addc_co_u32_e32 v5, vcc, v1, v3, vcc
	v_mad_u64_u32 v[0:1], s[14:15], s48, v10, 0
	v_mov_b32_e32 v2, v1
	v_mad_u64_u32 v[2:3], s[14:15], s49, v10, v[2:3]
	v_mov_b32_e32 v1, v2
	v_lshlrev_b64 v[0:1], 4, v[0:1]
	v_add_co_u32_e32 v0, vcc, v4, v0
	v_addc_co_u32_e32 v1, vcc, v5, v1, vcc
	v_mov_b32_e32 v2, s33
	v_add_co_u32_e32 v0, vcc, s9, v0
	v_addc_co_u32_e32 v1, vcc, v2, v1, vcc
	v_add_co_u32_e32 v44, vcc, 8, v0
	v_mbcnt_hi_u32_b32 v0, -1, v31
	v_pk_mov_b32 v[20:21], 0, 0
	v_and_or_b32 v0, v0, 64, v22
	v_cmp_lt_u64_e64 s[2:3], v[18:19], v[8:9]
	s_lshl_b64 s[24:25], s[50:51], 6
	s_lshl_b64 s[26:27], s[26:27], 6
	v_addc_co_u32_e32 v45, vcc, 0, v1, vcc
	s_lshl_b64 s[44:45], s[48:49], 6
	v_lshlrev_b32_e32 v47, 2, v0
	v_pk_mov_b32 v[24:25], v[20:21], v[20:21] op_sel:[0,1]
	v_pk_mov_b32 v[28:29], v[20:21], v[20:21] op_sel:[0,1]
	;; [unrolled: 1-line block ×7, first 2 shown]
	s_branch .LBB51_6
.LBB51_3:                               ;   in Loop: Header=BB51_6 Depth=1
	s_or_b64 exec, exec, s[46:47]
.LBB51_4:                               ;   in Loop: Header=BB51_6 Depth=1
	s_or_b64 exec, exec, s[14:15]
	s_waitcnt vmcnt(0)
	ds_bpermute_b32 v4, v47, v4
	ds_bpermute_b32 v5, v47, v5
	;; [unrolled: 1-line block ×4, first 2 shown]
.LBB51_5:                               ;   in Loop: Header=BB51_6 Depth=1
	s_waitcnt vmcnt(0) lgkmcnt(0)
	v_xor_b32_e32 v48, 0x80000000, v3
	v_cndmask_b32_e64 v3, v3, v48, s[10:11]
	v_cndmask_b32_e64 v2, v2, v2, s[10:11]
	v_xor_b32_e32 v48, 0x80000000, v7
	v_cndmask_b32_e64 v7, v7, v48, s[12:13]
	v_cndmask_b32_e64 v6, v6, v6, s[12:13]
	v_mfma_f64_16x16x4f64 v[48:55], v[0:1], v[4:5], 0
	s_add_u32 s52, s52, 4
	s_addc_u32 s53, s53, 0
	v_add_co_u32_e64 v38, s[14:15], s22, v38
	v_mfma_f64_16x16x4f64 v[56:63], v[2:3], v[6:7], 0
	s_nop 7
	s_nop 2
	v_add_f64 v[54:55], v[54:55], -v[62:63]
	v_pk_mov_b32 v[62:63], s[16:17], s[16:17] op_sel:[0,1]
	v_cmp_ge_i64_e32 vcc, s[52:53], v[62:63]
	v_mfma_f64_16x16x4f64 v[62:69], v[0:1], v[6:7], 0
	s_and_b64 vcc, exec, vcc
	v_add_f64 v[52:53], v[52:53], -v[60:61]
	v_add_f64 v[50:51], v[50:51], -v[58:59]
	;; [unrolled: 1-line block ×3, first 2 shown]
	v_add_f64 v[34:35], v[34:35], v[48:49]
	v_add_f64 v[32:33], v[32:33], v[50:51]
	;; [unrolled: 1-line block ×4, first 2 shown]
	v_mfma_f64_16x16x4f64 v[0:7], v[2:3], v[4:5], 0
	s_nop 7
	s_nop 2
	v_add_f64 v[0:1], v[62:63], v[0:1]
	v_add_f64 v[36:37], v[36:37], v[0:1]
	v_mov_b32_e32 v0, s23
	v_addc_co_u32_e64 v39, s[14:15], v39, v0, s[14:15]
	v_mov_b32_e32 v0, s25
	v_add_co_u32_e64 v40, s[14:15], s24, v40
	v_addc_co_u32_e64 v41, s[14:15], v41, v0, s[14:15]
	v_mov_b32_e32 v0, s27
	v_add_co_u32_e64 v42, s[14:15], s26, v42
	v_addc_co_u32_e64 v43, s[14:15], v43, v0, s[14:15]
	v_add_f64 v[6:7], v[68:69], v[6:7]
	v_add_f64 v[4:5], v[66:67], v[4:5]
	v_add_f64 v[2:3], v[64:65], v[2:3]
	v_mov_b32_e32 v0, s45
	v_add_co_u32_e64 v44, s[14:15], s44, v44
	v_add_f64 v[28:29], v[28:29], v[2:3]
	v_add_f64 v[24:25], v[24:25], v[4:5]
	;; [unrolled: 1-line block ×3, first 2 shown]
	v_addc_co_u32_e64 v45, s[14:15], v45, v0, s[14:15]
	s_cbranch_vccnz .LBB51_28
.LBB51_6:                               ; =>This Inner Loop Header: Depth=1
	s_and_b64 vcc, exec, s[54:55]
	s_cbranch_vccz .LBB51_18
; %bb.7:                                ;   in Loop: Header=BB51_6 Depth=1
	v_pk_mov_b32 v[0:1], 0, 0
	s_mov_b64 s[14:15], 0
	v_pk_mov_b32 v[2:3], v[0:1], v[0:1] op_sel:[0,1]
	s_and_saveexec_b64 s[46:47], s[2:3]
	s_cbranch_execz .LBB51_11
; %bb.8:                                ;   in Loop: Header=BB51_6 Depth=1
	v_mov_b32_e32 v1, s53
	v_add_co_u32_e32 v0, vcc, s52, v10
	v_addc_co_u32_e32 v1, vcc, 0, v1, vcc
	v_pk_mov_b32 v[2:3], 0, 0
	v_cmp_gt_i64_e32 vcc, s[16:17], v[0:1]
	v_pk_mov_b32 v[0:1], v[2:3], v[2:3] op_sel:[0,1]
	s_and_saveexec_b64 s[48:49], vcc
	s_cbranch_execz .LBB51_10
; %bb.9:                                ;   in Loop: Header=BB51_6 Depth=1
	global_load_dwordx4 v[0:3], v[42:43], off offset:-8
.LBB51_10:                              ;   in Loop: Header=BB51_6 Depth=1
	s_or_b64 exec, exec, s[48:49]
.LBB51_11:                              ;   in Loop: Header=BB51_6 Depth=1
	s_or_b64 exec, exec, s[46:47]
	s_waitcnt vmcnt(0)
	ds_bpermute_b32 v0, v47, v0
	ds_bpermute_b32 v1, v47, v1
	;; [unrolled: 1-line block ×4, first 2 shown]
	s_and_b64 vcc, exec, s[14:15]
	s_cbranch_vccnz .LBB51_19
.LBB51_12:                              ;   in Loop: Header=BB51_6 Depth=1
	s_and_b64 vcc, exec, s[56:57]
	s_cbranch_vccz .LBB51_24
.LBB51_13:                              ;   in Loop: Header=BB51_6 Depth=1
	v_pk_mov_b32 v[6:7], 0, 0
	s_mov_b64 s[14:15], 0
	v_pk_mov_b32 v[4:5], v[6:7], v[6:7] op_sel:[0,1]
	s_and_saveexec_b64 s[46:47], s[6:7]
	s_cbranch_execz .LBB51_17
; %bb.14:                               ;   in Loop: Header=BB51_6 Depth=1
	v_mov_b32_e32 v5, s53
	v_add_co_u32_e32 v4, vcc, s52, v30
	v_addc_co_u32_e32 v5, vcc, 0, v5, vcc
	v_pk_mov_b32 v[6:7], 0, 0
	v_cmp_gt_i64_e32 vcc, s[16:17], v[4:5]
	v_pk_mov_b32 v[4:5], v[6:7], v[6:7] op_sel:[0,1]
	s_and_saveexec_b64 s[48:49], vcc
	s_cbranch_execz .LBB51_16
; %bb.15:                               ;   in Loop: Header=BB51_6 Depth=1
	global_load_dwordx4 v[4:7], v[40:41], off offset:-8
.LBB51_16:                              ;   in Loop: Header=BB51_6 Depth=1
	s_or_b64 exec, exec, s[48:49]
.LBB51_17:                              ;   in Loop: Header=BB51_6 Depth=1
	s_or_b64 exec, exec, s[46:47]
	s_andn2_b64 vcc, exec, s[14:15]
	s_cbranch_vccnz .LBB51_5
	s_branch .LBB51_25
.LBB51_18:                              ;   in Loop: Header=BB51_6 Depth=1
                                        ; implicit-def: $vgpr2_vgpr3
	s_cbranch_execz .LBB51_12
.LBB51_19:                              ;   in Loop: Header=BB51_6 Depth=1
	s_waitcnt lgkmcnt(0)
	v_pk_mov_b32 v[2:3], 0, 0
	v_pk_mov_b32 v[0:1], v[2:3], v[2:3] op_sel:[0,1]
	s_and_saveexec_b64 s[14:15], s[4:5]
	s_cbranch_execz .LBB51_23
; %bb.20:                               ;   in Loop: Header=BB51_6 Depth=1
	v_mov_b32_e32 v1, s53
	v_add_co_u32_e32 v0, vcc, s52, v30
	v_addc_co_u32_e32 v1, vcc, 0, v1, vcc
	v_pk_mov_b32 v[2:3], 0, 0
	v_cmp_gt_i64_e32 vcc, s[16:17], v[0:1]
	v_pk_mov_b32 v[0:1], v[2:3], v[2:3] op_sel:[0,1]
	s_and_saveexec_b64 s[46:47], vcc
	s_cbranch_execz .LBB51_22
; %bb.21:                               ;   in Loop: Header=BB51_6 Depth=1
	global_load_dwordx4 v[0:3], v[38:39], off offset:-8
.LBB51_22:                              ;   in Loop: Header=BB51_6 Depth=1
	s_or_b64 exec, exec, s[46:47]
.LBB51_23:                              ;   in Loop: Header=BB51_6 Depth=1
	s_or_b64 exec, exec, s[14:15]
	s_and_b64 vcc, exec, s[56:57]
	s_cbranch_vccnz .LBB51_13
.LBB51_24:                              ;   in Loop: Header=BB51_6 Depth=1
                                        ; implicit-def: $vgpr6_vgpr7
.LBB51_25:                              ;   in Loop: Header=BB51_6 Depth=1
	s_waitcnt vmcnt(0)
	v_pk_mov_b32 v[4:5], 0, 0
	v_pk_mov_b32 v[6:7], v[4:5], v[4:5] op_sel:[0,1]
	s_and_saveexec_b64 s[14:15], s[0:1]
	s_cbranch_execz .LBB51_4
; %bb.26:                               ;   in Loop: Header=BB51_6 Depth=1
	v_mov_b32_e32 v5, s53
	v_add_co_u32_e32 v4, vcc, s52, v10
	v_addc_co_u32_e32 v5, vcc, 0, v5, vcc
	v_pk_mov_b32 v[6:7], 0, 0
	v_cmp_gt_i64_e32 vcc, s[16:17], v[4:5]
	v_pk_mov_b32 v[4:5], v[6:7], v[6:7] op_sel:[0,1]
	s_and_saveexec_b64 s[46:47], vcc
	s_cbranch_execz .LBB51_3
; %bb.27:                               ;   in Loop: Header=BB51_6 Depth=1
	global_load_dwordx4 v[4:7], v[44:45], off offset:-8
	s_branch .LBB51_3
.LBB51_28:
	s_waitcnt lgkmcnt(0)
	s_mul_i32 s0, s8, s35
	s_mul_hi_u32 s1, s8, s34
	s_add_i32 s1, s1, s0
	s_mul_i32 s0, s8, s34
	s_lshl_b64 s[0:1], s[0:1], 4
	s_add_u32 s2, s40, s0
	s_addc_u32 s3, s41, s1
	s_lshl_b64 s[0:1], s[42:43], 4
	s_add_u32 s2, s2, s0
	s_addc_u32 s3, s3, s1
	v_mul_lo_u32 v2, v17, s30
	v_mul_lo_u32 v3, v16, s31
	v_mad_u64_u32 v[0:1], s[0:1], v16, s30, 0
	v_add3_u32 v1, v1, v3, v2
	v_mul_lo_u32 v4, v13, s28
	v_mul_lo_u32 v5, v12, s29
	v_mad_u64_u32 v[2:3], s[0:1], v12, s28, 0
	v_lshlrev_b64 v[0:1], 4, v[0:1]
	v_add3_u32 v3, v3, v5, v4
	v_mov_b32_e32 v4, s3
	v_add_co_u32_e32 v5, vcc, s2, v0
	v_addc_co_u32_e32 v4, vcc, v4, v1, vcc
	v_lshlrev_b64 v[0:1], 4, v[2:3]
	v_add_co_u32_e32 v6, vcc, v5, v0
	v_lshl_or_b32 v0, v46, 4, v18
	v_addc_co_u32_e32 v7, vcc, v4, v1, vcc
	v_mbcnt_hi_u32_b32 v1, -1, v31
	v_and_b32_e32 v0, 63, v0
	v_and_or_b32 v0, v1, 64, v0
	v_lshlrev_b32_e32 v12, 2, v0
	v_mad_u64_u32 v[0:1], s[0:1], v18, s30, 0
	v_mov_b32_e32 v2, v1
	v_mad_u64_u32 v[2:3], s[0:1], v18, s31, v[2:3]
	v_mov_b32_e32 v1, v2
	v_lshlrev_b64 v[4:5], 4, v[0:1]
	ds_bpermute_b32 v0, v12, v34
	ds_bpermute_b32 v1, v12, v35
	;; [unrolled: 1-line block ×4, first 2 shown]
	v_add_co_u32_e64 v6, s[0:1], v6, v4
	v_addc_co_u32_e64 v7, s[0:1], v7, v5, s[0:1]
	v_cmp_lt_u64_e32 vcc, v[18:19], v[14:15]
	v_cmp_lt_u64_e64 s[0:1], v[10:11], v[8:9]
	s_and_b64 s[0:1], vcc, s[0:1]
	s_and_saveexec_b64 s[2:3], s[0:1]
	s_cbranch_execz .LBB51_30
; %bb.29:
	v_mad_u64_u32 v[4:5], s[0:1], v10, s28, 0
	v_mov_b32_e32 v14, v5
	v_mad_u64_u32 v[14:15], s[0:1], v10, s29, v[14:15]
	v_mov_b32_e32 v5, v14
	v_lshlrev_b64 v[4:5], 4, v[4:5]
	v_add_co_u32_e64 v4, s[0:1], v6, v4
	v_addc_co_u32_e64 v5, s[0:1], v7, v5, s[0:1]
	global_load_dwordx4 v[14:17], v[4:5], off
	s_waitcnt lgkmcnt(0)
	v_mul_f64 v[18:19], s[20:21], v[2:3]
	v_mul_f64 v[2:3], s[18:19], v[2:3]
	v_fma_f64 v[18:19], s[18:19], v[0:1], -v[18:19]
	v_fmac_f64_e32 v[2:3], s[20:21], v[0:1]
	s_waitcnt vmcnt(0)
	v_mul_f64 v[0:1], s[38:39], v[16:17]
	v_mul_f64 v[16:17], s[36:37], v[16:17]
	v_fma_f64 v[0:1], s[36:37], v[14:15], -v[0:1]
	v_fmac_f64_e32 v[16:17], s[38:39], v[14:15]
	v_add_f64 v[0:1], v[18:19], v[0:1]
	v_add_f64 v[2:3], v[2:3], v[16:17]
	global_store_dwordx4 v[4:5], v[0:3], off
.LBB51_30:
	s_or_b64 exec, exec, s[2:3]
	s_waitcnt lgkmcnt(3)
	ds_bpermute_b32 v0, v12, v32
	s_waitcnt lgkmcnt(3)
	ds_bpermute_b32 v1, v12, v33
	;; [unrolled: 2-line block ×4, first 2 shown]
	v_or_b32_e32 v4, 4, v10
	v_mov_b32_e32 v5, v11
	v_cmp_lt_u64_e64 s[0:1], v[4:5], v[8:9]
	s_and_b64 s[0:1], vcc, s[0:1]
	s_and_saveexec_b64 s[2:3], s[0:1]
	s_cbranch_execz .LBB51_32
; %bb.31:
	v_mad_u64_u32 v[14:15], s[0:1], v4, s28, 0
	v_mov_b32_e32 v16, v15
	v_mad_u64_u32 v[4:5], s[0:1], v4, s29, v[16:17]
	v_mov_b32_e32 v15, v4
	v_lshlrev_b64 v[4:5], 4, v[14:15]
	v_add_co_u32_e64 v4, s[0:1], v6, v4
	v_addc_co_u32_e64 v5, s[0:1], v7, v5, s[0:1]
	global_load_dwordx4 v[14:17], v[4:5], off
	s_waitcnt lgkmcnt(0)
	v_mul_f64 v[18:19], s[20:21], v[2:3]
	v_mul_f64 v[2:3], s[18:19], v[2:3]
	v_fma_f64 v[18:19], s[18:19], v[0:1], -v[18:19]
	v_fmac_f64_e32 v[2:3], s[20:21], v[0:1]
	s_waitcnt vmcnt(0)
	v_mul_f64 v[0:1], s[38:39], v[16:17]
	v_mul_f64 v[16:17], s[36:37], v[16:17]
	v_fma_f64 v[0:1], s[36:37], v[14:15], -v[0:1]
	v_fmac_f64_e32 v[16:17], s[38:39], v[14:15]
	v_add_f64 v[0:1], v[18:19], v[0:1]
	v_add_f64 v[2:3], v[2:3], v[16:17]
	global_store_dwordx4 v[4:5], v[0:3], off
.LBB51_32:
	s_or_b64 exec, exec, s[2:3]
	s_waitcnt lgkmcnt(3)
	ds_bpermute_b32 v0, v12, v26
	s_waitcnt lgkmcnt(3)
	ds_bpermute_b32 v1, v12, v27
	;; [unrolled: 2-line block ×4, first 2 shown]
	v_or_b32_e32 v4, 8, v10
	v_mov_b32_e32 v5, v11
	v_cmp_lt_u64_e64 s[0:1], v[4:5], v[8:9]
	s_and_b64 s[0:1], vcc, s[0:1]
	s_and_saveexec_b64 s[2:3], s[0:1]
	s_cbranch_execz .LBB51_34
; %bb.33:
	v_mad_u64_u32 v[14:15], s[0:1], v4, s28, 0
	v_mov_b32_e32 v16, v15
	v_mad_u64_u32 v[4:5], s[0:1], v4, s29, v[16:17]
	v_mov_b32_e32 v15, v4
	v_lshlrev_b64 v[4:5], 4, v[14:15]
	v_add_co_u32_e64 v4, s[0:1], v6, v4
	v_addc_co_u32_e64 v5, s[0:1], v7, v5, s[0:1]
	global_load_dwordx4 v[14:17], v[4:5], off
	s_waitcnt lgkmcnt(0)
	v_mul_f64 v[18:19], s[20:21], v[2:3]
	v_mul_f64 v[2:3], s[18:19], v[2:3]
	v_fma_f64 v[18:19], s[18:19], v[0:1], -v[18:19]
	v_fmac_f64_e32 v[2:3], s[20:21], v[0:1]
	s_waitcnt vmcnt(0)
	v_mul_f64 v[0:1], s[38:39], v[16:17]
	v_mul_f64 v[16:17], s[36:37], v[16:17]
	v_fma_f64 v[0:1], s[36:37], v[14:15], -v[0:1]
	v_fmac_f64_e32 v[16:17], s[38:39], v[14:15]
	v_add_f64 v[0:1], v[18:19], v[0:1]
	v_add_f64 v[2:3], v[2:3], v[16:17]
	global_store_dwordx4 v[4:5], v[0:3], off
.LBB51_34:
	s_or_b64 exec, exec, s[2:3]
	s_waitcnt lgkmcnt(3)
	ds_bpermute_b32 v0, v12, v22
	s_waitcnt lgkmcnt(3)
	ds_bpermute_b32 v1, v12, v23
	;; [unrolled: 2-line block ×4, first 2 shown]
	v_or_b32_e32 v10, 12, v10
	v_cmp_lt_u64_e64 s[0:1], v[10:11], v[8:9]
	s_and_b64 s[0:1], vcc, s[0:1]
	s_and_b64 exec, exec, s[0:1]
	s_cbranch_execz .LBB51_36
; %bb.35:
	v_mad_u64_u32 v[4:5], s[0:1], v10, s28, 0
	v_mov_b32_e32 v8, v5
	v_mad_u64_u32 v[8:9], s[0:1], v10, s29, v[8:9]
	v_mov_b32_e32 v5, v8
	v_lshlrev_b64 v[4:5], 4, v[4:5]
	v_add_co_u32_e32 v8, vcc, v6, v4
	v_addc_co_u32_e32 v9, vcc, v7, v5, vcc
	global_load_dwordx4 v[4:7], v[8:9], off
	s_waitcnt lgkmcnt(0)
	v_mul_f64 v[10:11], s[20:21], v[2:3]
	v_mul_f64 v[2:3], s[18:19], v[2:3]
	v_fma_f64 v[10:11], s[18:19], v[0:1], -v[10:11]
	v_fmac_f64_e32 v[2:3], s[20:21], v[0:1]
	s_waitcnt vmcnt(0)
	v_mul_f64 v[0:1], s[38:39], v[6:7]
	v_mul_f64 v[6:7], s[36:37], v[6:7]
	v_fma_f64 v[0:1], s[36:37], v[4:5], -v[0:1]
	v_fmac_f64_e32 v[6:7], s[38:39], v[4:5]
	v_add_f64 v[0:1], v[10:11], v[0:1]
	v_add_f64 v[2:3], v[2:3], v[6:7]
	global_store_dwordx4 v[8:9], v[0:3], off
.LBB51_36:
	s_endpgm
	.section	.rodata,"a",@progbits
	.p2align	6, 0x0
	.amdhsa_kernel _ZN9rocsolver6v33100L16mfma_gemm_kernelI19rocblas_complex_numIdElS3_PKPS3_S6_S4_EEv18rocblas_operation_S7_T0_S8_S8_T1_T2_lS8_S8_lT3_lS8_S8_lS9_T4_lS8_S8_l
		.amdhsa_group_segment_fixed_size 0
		.amdhsa_private_segment_fixed_size 0
		.amdhsa_kernarg_size 440
		.amdhsa_user_sgpr_count 6
		.amdhsa_user_sgpr_private_segment_buffer 1
		.amdhsa_user_sgpr_dispatch_ptr 0
		.amdhsa_user_sgpr_queue_ptr 0
		.amdhsa_user_sgpr_kernarg_segment_ptr 1
		.amdhsa_user_sgpr_dispatch_id 0
		.amdhsa_user_sgpr_flat_scratch_init 0
		.amdhsa_user_sgpr_kernarg_preload_length 0
		.amdhsa_user_sgpr_kernarg_preload_offset 0
		.amdhsa_user_sgpr_private_segment_size 0
		.amdhsa_uses_dynamic_stack 0
		.amdhsa_system_sgpr_private_segment_wavefront_offset 0
		.amdhsa_system_sgpr_workgroup_id_x 1
		.amdhsa_system_sgpr_workgroup_id_y 1
		.amdhsa_system_sgpr_workgroup_id_z 1
		.amdhsa_system_sgpr_workgroup_info 0
		.amdhsa_system_vgpr_workitem_id 1
		.amdhsa_next_free_vgpr 70
		.amdhsa_next_free_sgpr 60
		.amdhsa_accum_offset 72
		.amdhsa_reserve_vcc 1
		.amdhsa_reserve_flat_scratch 0
		.amdhsa_float_round_mode_32 0
		.amdhsa_float_round_mode_16_64 0
		.amdhsa_float_denorm_mode_32 3
		.amdhsa_float_denorm_mode_16_64 3
		.amdhsa_dx10_clamp 1
		.amdhsa_ieee_mode 1
		.amdhsa_fp16_overflow 0
		.amdhsa_tg_split 0
		.amdhsa_exception_fp_ieee_invalid_op 0
		.amdhsa_exception_fp_denorm_src 0
		.amdhsa_exception_fp_ieee_div_zero 0
		.amdhsa_exception_fp_ieee_overflow 0
		.amdhsa_exception_fp_ieee_underflow 0
		.amdhsa_exception_fp_ieee_inexact 0
		.amdhsa_exception_int_div_zero 0
	.end_amdhsa_kernel
	.section	.text._ZN9rocsolver6v33100L16mfma_gemm_kernelI19rocblas_complex_numIdElS3_PKPS3_S6_S4_EEv18rocblas_operation_S7_T0_S8_S8_T1_T2_lS8_S8_lT3_lS8_S8_lS9_T4_lS8_S8_l,"axG",@progbits,_ZN9rocsolver6v33100L16mfma_gemm_kernelI19rocblas_complex_numIdElS3_PKPS3_S6_S4_EEv18rocblas_operation_S7_T0_S8_S8_T1_T2_lS8_S8_lT3_lS8_S8_lS9_T4_lS8_S8_l,comdat
.Lfunc_end51:
	.size	_ZN9rocsolver6v33100L16mfma_gemm_kernelI19rocblas_complex_numIdElS3_PKPS3_S6_S4_EEv18rocblas_operation_S7_T0_S8_S8_T1_T2_lS8_S8_lT3_lS8_S8_lS9_T4_lS8_S8_l, .Lfunc_end51-_ZN9rocsolver6v33100L16mfma_gemm_kernelI19rocblas_complex_numIdElS3_PKPS3_S6_S4_EEv18rocblas_operation_S7_T0_S8_S8_T1_T2_lS8_S8_lT3_lS8_S8_lS9_T4_lS8_S8_l
                                        ; -- End function
	.section	.AMDGPU.csdata,"",@progbits
; Kernel info:
; codeLenInByte = 2988
; NumSgprs: 64
; NumVgprs: 70
; NumAgprs: 0
; TotalNumVgprs: 70
; ScratchSize: 0
; MemoryBound: 1
; FloatMode: 240
; IeeeMode: 1
; LDSByteSize: 0 bytes/workgroup (compile time only)
; SGPRBlocks: 7
; VGPRBlocks: 8
; NumSGPRsForWavesPerEU: 64
; NumVGPRsForWavesPerEU: 70
; AccumOffset: 72
; Occupancy: 7
; WaveLimiterHint : 1
; COMPUTE_PGM_RSRC2:SCRATCH_EN: 0
; COMPUTE_PGM_RSRC2:USER_SGPR: 6
; COMPUTE_PGM_RSRC2:TRAP_HANDLER: 0
; COMPUTE_PGM_RSRC2:TGID_X_EN: 1
; COMPUTE_PGM_RSRC2:TGID_Y_EN: 1
; COMPUTE_PGM_RSRC2:TGID_Z_EN: 1
; COMPUTE_PGM_RSRC2:TIDIG_COMP_CNT: 1
; COMPUTE_PGM_RSRC3_GFX90A:ACCUM_OFFSET: 17
; COMPUTE_PGM_RSRC3_GFX90A:TG_SPLIT: 0
	.section	.text._ZN9rocsolver6v33100L11gemm_kernelI19rocblas_complex_numIdElPKS3_PKPS3_S8_S6_EEvT0_S9_S9_T1_bT2_lS9_S9_lbT3_lS9_S9_lSA_T4_lS9_S9_l,"axG",@progbits,_ZN9rocsolver6v33100L11gemm_kernelI19rocblas_complex_numIdElPKS3_PKPS3_S8_S6_EEvT0_S9_S9_T1_bT2_lS9_S9_lbT3_lS9_S9_lSA_T4_lS9_S9_l,comdat
	.globl	_ZN9rocsolver6v33100L11gemm_kernelI19rocblas_complex_numIdElPKS3_PKPS3_S8_S6_EEvT0_S9_S9_T1_bT2_lS9_S9_lbT3_lS9_S9_lSA_T4_lS9_S9_l ; -- Begin function _ZN9rocsolver6v33100L11gemm_kernelI19rocblas_complex_numIdElPKS3_PKPS3_S8_S6_EEvT0_S9_S9_T1_bT2_lS9_S9_lbT3_lS9_S9_lSA_T4_lS9_S9_l
	.p2align	8
	.type	_ZN9rocsolver6v33100L11gemm_kernelI19rocblas_complex_numIdElPKS3_PKPS3_S8_S6_EEvT0_S9_S9_T1_bT2_lS9_S9_lbT3_lS9_S9_lSA_T4_lS9_S9_l,@function
_ZN9rocsolver6v33100L11gemm_kernelI19rocblas_complex_numIdElPKS3_PKPS3_S8_S6_EEvT0_S9_S9_T1_bT2_lS9_S9_lbT3_lS9_S9_lSA_T4_lS9_S9_l: ; @_ZN9rocsolver6v33100L11gemm_kernelI19rocblas_complex_numIdElPKS3_PKPS3_S8_S6_EEvT0_S9_S9_T1_bT2_lS9_S9_lbT3_lS9_S9_lSA_T4_lS9_S9_l
; %bb.0:
	s_load_dword s0, s[4:5], 0xbc
	s_load_dwordx8 s[16:23], s[4:5], 0x0
	v_and_b32_e32 v4, 0x3ff, v0
	v_mov_b32_e32 v5, 0
	v_mov_b32_e32 v1, s6
	s_waitcnt lgkmcnt(0)
	s_lshr_b32 s2, s0, 16
	s_and_b32 s0, s0, 0xffff
	v_mad_u64_u32 v[2:3], s[0:1], s0, v1, v[4:5]
	v_bfe_u32 v4, v0, 10, 10
	v_mov_b32_e32 v0, s7
	v_mad_u64_u32 v[0:1], s[0:1], s2, v0, v[4:5]
	v_cmp_gt_i64_e32 vcc, s[16:17], v[2:3]
	v_cmp_gt_i64_e64 s[0:1], s[18:19], v[0:1]
	s_mov_b32 s9, 0
	s_and_b64 s[0:1], vcc, s[0:1]
	s_and_saveexec_b64 s[2:3], s[0:1]
	s_cbranch_execz .LBB52_5
; %bb.1:
	s_load_dwordx8 s[12:19], s[4:5], 0x80
	s_load_dwordx4 s[44:47], s[4:5], 0xa0
	v_cmp_lt_i64_e64 s[0:1], s[20:21], 1
	v_pk_mov_b32 v[4:5], 0, 0
	s_and_b64 vcc, exec, s[0:1]
	v_pk_mov_b32 v[6:7], v[4:5], v[4:5] op_sel:[0,1]
	s_cbranch_vccnz .LBB52_4
; %bb.2:
	s_load_dwordx8 s[36:43], s[4:5], 0x28
	s_load_dword s10, s[4:5], 0x20
	s_load_dword s11, s[4:5], 0x50
	s_load_dwordx8 s[24:31], s[4:5], 0x58
	s_lshl_b64 s[0:1], s[8:9], 3
	s_waitcnt lgkmcnt(0)
	s_add_u32 s2, s36, s0
	s_addc_u32 s3, s37, s1
	s_load_dwordx2 s[2:3], s[2:3], 0x0
	s_add_u32 s0, s24, s0
	s_addc_u32 s1, s25, s1
	s_bitcmp1_b32 s10, 0
	s_cselect_b64 vcc, -1, 0
	s_bitcmp1_b32 s11, 0
	v_mad_u64_u32 v[4:5], s[4:5], s40, v2, 0
	s_load_dwordx2 s[6:7], s[0:1], 0x0
	s_cselect_b64 s[0:1], -1, 0
	v_mul_lo_u32 v6, s41, v2
	v_mul_lo_u32 v7, s40, v3
	s_lshl_b64 s[4:5], s[38:39], 4
	v_add3_u32 v5, v5, v7, v6
	s_waitcnt lgkmcnt(0)
	s_add_u32 s2, s2, s4
	v_lshlrev_b64 v[4:5], 4, v[4:5]
	s_addc_u32 s3, s3, s5
	v_mov_b32_e32 v6, s3
	v_add_co_u32_e64 v4, s[2:3], s2, v4
	v_addc_co_u32_e64 v5, s[2:3], v6, v5, s[2:3]
	v_add_co_u32_e64 v8, s[2:3], 8, v4
	v_addc_co_u32_e64 v9, s[2:3], 0, v5, s[2:3]
	v_mad_u64_u32 v[4:5], s[2:3], s30, v0, 0
	s_lshl_b64 s[4:5], s[42:43], 4
	v_mul_lo_u32 v6, s31, v0
	v_mul_lo_u32 v7, s30, v1
	s_lshl_b64 s[2:3], s[26:27], 4
	v_add3_u32 v5, v5, v7, v6
	s_add_u32 s2, s6, s2
	v_lshlrev_b64 v[4:5], 4, v[4:5]
	s_addc_u32 s3, s7, s3
	v_mov_b32_e32 v6, s3
	v_add_co_u32_e64 v4, s[2:3], s2, v4
	v_addc_co_u32_e64 v5, s[2:3], v6, v5, s[2:3]
	v_add_co_u32_e64 v10, s[2:3], 8, v4
	v_addc_co_u32_e64 v11, s[2:3], 0, v5, s[2:3]
	s_lshl_b64 s[6:7], s[28:29], 4
	v_pk_mov_b32 v[4:5], 0, 0
	v_mov_b32_e32 v12, s5
	v_mov_b32_e32 v13, s7
	v_pk_mov_b32 v[6:7], v[4:5], v[4:5] op_sel:[0,1]
.LBB52_3:                               ; =>This Inner Loop Header: Depth=1
	global_load_dwordx4 v[14:17], v[8:9], off offset:-8
	global_load_dwordx4 v[18:21], v[10:11], off offset:-8
	v_add_co_u32_e64 v8, s[2:3], s4, v8
	s_add_u32 s20, s20, -1
	v_addc_co_u32_e64 v9, s[2:3], v9, v12, s[2:3]
	v_add_co_u32_e64 v10, s[2:3], s6, v10
	s_addc_u32 s21, s21, -1
	v_addc_co_u32_e64 v11, s[2:3], v11, v13, s[2:3]
	s_cmp_eq_u64 s[20:21], 0
	s_waitcnt vmcnt(1)
	v_xor_b32_e32 v22, 0x80000000, v17
	s_waitcnt vmcnt(0)
	v_xor_b32_e32 v23, 0x80000000, v21
	v_cndmask_b32_e32 v17, v17, v22, vcc
	v_cndmask_b32_e64 v21, v21, v23, s[0:1]
	v_mul_f64 v[22:23], v[16:17], v[20:21]
	v_mul_f64 v[16:17], v[16:17], v[18:19]
	v_fma_f64 v[18:19], v[14:15], v[18:19], -v[22:23]
	v_fmac_f64_e32 v[16:17], v[14:15], v[20:21]
	v_add_f64 v[6:7], v[6:7], v[18:19]
	v_add_f64 v[4:5], v[4:5], v[16:17]
	s_cbranch_scc0 .LBB52_3
.LBB52_4:
	s_waitcnt lgkmcnt(0)
	s_mul_i32 s9, s8, s47
	s_mul_hi_u32 s10, s8, s46
	s_add_i32 s9, s10, s9
	s_mul_i32 s8, s8, s46
	s_lshl_b64 s[8:9], s[8:9], 4
	s_add_u32 s10, s14, s8
	s_addc_u32 s11, s15, s9
	s_lshl_b64 s[8:9], s[16:17], 4
	s_add_u32 s10, s10, s8
	s_addc_u32 s11, s11, s9
	v_mul_lo_u32 v8, v3, s18
	v_mul_lo_u32 v9, v2, s19
	v_mad_u64_u32 v[2:3], s[8:9], v2, s18, 0
	v_add3_u32 v3, v3, v9, v8
	v_mul_lo_u32 v8, v1, s44
	v_mul_lo_u32 v9, v0, s45
	v_mad_u64_u32 v[0:1], s[8:9], v0, s44, 0
	v_lshlrev_b64 v[2:3], 4, v[2:3]
	v_add3_u32 v1, v1, v9, v8
	v_mov_b32_e32 v8, s11
	v_add_co_u32_e32 v2, vcc, s10, v2
	v_addc_co_u32_e32 v3, vcc, v8, v3, vcc
	v_lshlrev_b64 v[0:1], 4, v[0:1]
	v_add_co_u32_e32 v8, vcc, v2, v0
	v_addc_co_u32_e32 v9, vcc, v3, v1, vcc
	s_load_dwordx4 s[4:7], s[22:23], 0x0
	s_load_dwordx4 s[0:3], s[12:13], 0x0
	global_load_dwordx4 v[0:3], v[8:9], off
	s_waitcnt lgkmcnt(0)
	v_mul_f64 v[10:11], s[6:7], v[4:5]
	v_mul_f64 v[4:5], s[4:5], v[4:5]
	v_fma_f64 v[10:11], s[4:5], v[6:7], -v[10:11]
	v_fmac_f64_e32 v[4:5], s[6:7], v[6:7]
	s_waitcnt vmcnt(0)
	v_mul_f64 v[6:7], s[2:3], v[2:3]
	v_mul_f64 v[2:3], s[0:1], v[2:3]
	v_fma_f64 v[6:7], s[0:1], v[0:1], -v[6:7]
	v_fmac_f64_e32 v[2:3], s[2:3], v[0:1]
	v_add_f64 v[0:1], v[10:11], v[6:7]
	v_add_f64 v[2:3], v[4:5], v[2:3]
	global_store_dwordx4 v[8:9], v[0:3], off
.LBB52_5:
	s_endpgm
	.section	.rodata,"a",@progbits
	.p2align	6, 0x0
	.amdhsa_kernel _ZN9rocsolver6v33100L11gemm_kernelI19rocblas_complex_numIdElPKS3_PKPS3_S8_S6_EEvT0_S9_S9_T1_bT2_lS9_S9_lbT3_lS9_S9_lSA_T4_lS9_S9_l
		.amdhsa_group_segment_fixed_size 0
		.amdhsa_private_segment_fixed_size 0
		.amdhsa_kernarg_size 432
		.amdhsa_user_sgpr_count 6
		.amdhsa_user_sgpr_private_segment_buffer 1
		.amdhsa_user_sgpr_dispatch_ptr 0
		.amdhsa_user_sgpr_queue_ptr 0
		.amdhsa_user_sgpr_kernarg_segment_ptr 1
		.amdhsa_user_sgpr_dispatch_id 0
		.amdhsa_user_sgpr_flat_scratch_init 0
		.amdhsa_user_sgpr_kernarg_preload_length 0
		.amdhsa_user_sgpr_kernarg_preload_offset 0
		.amdhsa_user_sgpr_private_segment_size 0
		.amdhsa_uses_dynamic_stack 0
		.amdhsa_system_sgpr_private_segment_wavefront_offset 0
		.amdhsa_system_sgpr_workgroup_id_x 1
		.amdhsa_system_sgpr_workgroup_id_y 1
		.amdhsa_system_sgpr_workgroup_id_z 1
		.amdhsa_system_sgpr_workgroup_info 0
		.amdhsa_system_vgpr_workitem_id 1
		.amdhsa_next_free_vgpr 24
		.amdhsa_next_free_sgpr 48
		.amdhsa_accum_offset 24
		.amdhsa_reserve_vcc 1
		.amdhsa_reserve_flat_scratch 0
		.amdhsa_float_round_mode_32 0
		.amdhsa_float_round_mode_16_64 0
		.amdhsa_float_denorm_mode_32 3
		.amdhsa_float_denorm_mode_16_64 3
		.amdhsa_dx10_clamp 1
		.amdhsa_ieee_mode 1
		.amdhsa_fp16_overflow 0
		.amdhsa_tg_split 0
		.amdhsa_exception_fp_ieee_invalid_op 0
		.amdhsa_exception_fp_denorm_src 0
		.amdhsa_exception_fp_ieee_div_zero 0
		.amdhsa_exception_fp_ieee_overflow 0
		.amdhsa_exception_fp_ieee_underflow 0
		.amdhsa_exception_fp_ieee_inexact 0
		.amdhsa_exception_int_div_zero 0
	.end_amdhsa_kernel
	.section	.text._ZN9rocsolver6v33100L11gemm_kernelI19rocblas_complex_numIdElPKS3_PKPS3_S8_S6_EEvT0_S9_S9_T1_bT2_lS9_S9_lbT3_lS9_S9_lSA_T4_lS9_S9_l,"axG",@progbits,_ZN9rocsolver6v33100L11gemm_kernelI19rocblas_complex_numIdElPKS3_PKPS3_S8_S6_EEvT0_S9_S9_T1_bT2_lS9_S9_lbT3_lS9_S9_lSA_T4_lS9_S9_l,comdat
.Lfunc_end52:
	.size	_ZN9rocsolver6v33100L11gemm_kernelI19rocblas_complex_numIdElPKS3_PKPS3_S8_S6_EEvT0_S9_S9_T1_bT2_lS9_S9_lbT3_lS9_S9_lSA_T4_lS9_S9_l, .Lfunc_end52-_ZN9rocsolver6v33100L11gemm_kernelI19rocblas_complex_numIdElPKS3_PKPS3_S8_S6_EEvT0_S9_S9_T1_bT2_lS9_S9_lbT3_lS9_S9_lSA_T4_lS9_S9_l
                                        ; -- End function
	.section	.AMDGPU.csdata,"",@progbits
; Kernel info:
; codeLenInByte = 856
; NumSgprs: 52
; NumVgprs: 24
; NumAgprs: 0
; TotalNumVgprs: 24
; ScratchSize: 0
; MemoryBound: 0
; FloatMode: 240
; IeeeMode: 1
; LDSByteSize: 0 bytes/workgroup (compile time only)
; SGPRBlocks: 6
; VGPRBlocks: 2
; NumSGPRsForWavesPerEU: 52
; NumVGPRsForWavesPerEU: 24
; AccumOffset: 24
; Occupancy: 8
; WaveLimiterHint : 0
; COMPUTE_PGM_RSRC2:SCRATCH_EN: 0
; COMPUTE_PGM_RSRC2:USER_SGPR: 6
; COMPUTE_PGM_RSRC2:TRAP_HANDLER: 0
; COMPUTE_PGM_RSRC2:TGID_X_EN: 1
; COMPUTE_PGM_RSRC2:TGID_Y_EN: 1
; COMPUTE_PGM_RSRC2:TGID_Z_EN: 1
; COMPUTE_PGM_RSRC2:TIDIG_COMP_CNT: 1
; COMPUTE_PGM_RSRC3_GFX90A:ACCUM_OFFSET: 5
; COMPUTE_PGM_RSRC3_GFX90A:TG_SPLIT: 0
	.section	.text._ZN9rocsolver6v33100L11gemm_kernelI19rocblas_complex_numIdElS3_PKPS3_S6_S4_EEvT0_S7_S7_T1_bT2_lS7_S7_lbT3_lS7_S7_lS8_T4_lS7_S7_l,"axG",@progbits,_ZN9rocsolver6v33100L11gemm_kernelI19rocblas_complex_numIdElS3_PKPS3_S6_S4_EEvT0_S7_S7_T1_bT2_lS7_S7_lbT3_lS7_S7_lS8_T4_lS7_S7_l,comdat
	.globl	_ZN9rocsolver6v33100L11gemm_kernelI19rocblas_complex_numIdElS3_PKPS3_S6_S4_EEvT0_S7_S7_T1_bT2_lS7_S7_lbT3_lS7_S7_lS8_T4_lS7_S7_l ; -- Begin function _ZN9rocsolver6v33100L11gemm_kernelI19rocblas_complex_numIdElS3_PKPS3_S6_S4_EEvT0_S7_S7_T1_bT2_lS7_S7_lbT3_lS7_S7_lS8_T4_lS7_S7_l
	.p2align	8
	.type	_ZN9rocsolver6v33100L11gemm_kernelI19rocblas_complex_numIdElS3_PKPS3_S6_S4_EEvT0_S7_S7_T1_bT2_lS7_S7_lbT3_lS7_S7_lS8_T4_lS7_S7_l,@function
_ZN9rocsolver6v33100L11gemm_kernelI19rocblas_complex_numIdElS3_PKPS3_S6_S4_EEvT0_S7_S7_T1_bT2_lS7_S7_lbT3_lS7_S7_lS8_T4_lS7_S7_l: ; @_ZN9rocsolver6v33100L11gemm_kernelI19rocblas_complex_numIdElS3_PKPS3_S6_S4_EEvT0_S7_S7_T1_bT2_lS7_S7_lbT3_lS7_S7_lS8_T4_lS7_S7_l
; %bb.0:
	s_load_dword s0, s[4:5], 0xcc
	s_load_dwordx8 s[12:19], s[4:5], 0x0
	v_and_b32_e32 v4, 0x3ff, v0
	v_mov_b32_e32 v5, 0
	v_mov_b32_e32 v1, s6
	s_waitcnt lgkmcnt(0)
	s_lshr_b32 s2, s0, 16
	s_and_b32 s0, s0, 0xffff
	v_mad_u64_u32 v[2:3], s[0:1], s0, v1, v[4:5]
	v_bfe_u32 v4, v0, 10, 10
	v_mov_b32_e32 v0, s7
	v_mad_u64_u32 v[0:1], s[0:1], s2, v0, v[4:5]
	v_cmp_gt_i64_e32 vcc, s[12:13], v[2:3]
	v_cmp_gt_i64_e64 s[0:1], s[14:15], v[0:1]
	s_mov_b32 s9, 0
	s_and_b64 s[0:1], vcc, s[0:1]
	s_and_saveexec_b64 s[2:3], s[0:1]
	s_cbranch_execz .LBB53_5
; %bb.1:
	s_load_dwordx2 s[6:7], s[4:5], 0x20
	s_load_dwordx8 s[20:27], s[4:5], 0x88
	s_load_dwordx4 s[12:15], s[4:5], 0xa8
	s_load_dwordx2 s[10:11], s[4:5], 0xb8
	v_cmp_lt_i64_e64 s[0:1], s[16:17], 1
	v_pk_mov_b32 v[4:5], 0, 0
	s_and_b64 vcc, exec, s[0:1]
	v_pk_mov_b32 v[6:7], v[4:5], v[4:5] op_sel:[0,1]
	s_cbranch_vccnz .LBB53_4
; %bb.2:
	s_load_dwordx8 s[44:51], s[4:5], 0x30
	s_load_dword s30, s[4:5], 0x28
	s_load_dword s31, s[4:5], 0x58
	s_load_dwordx8 s[36:43], s[4:5], 0x60
	s_lshl_b64 s[0:1], s[8:9], 3
	s_waitcnt lgkmcnt(0)
	s_add_u32 s2, s44, s0
	s_addc_u32 s3, s45, s1
	s_load_dwordx2 s[2:3], s[2:3], 0x0
	s_add_u32 s0, s36, s0
	s_addc_u32 s1, s37, s1
	s_bitcmp1_b32 s30, 0
	s_cselect_b64 vcc, -1, 0
	s_bitcmp1_b32 s31, 0
	v_mad_u64_u32 v[4:5], s[4:5], s48, v2, 0
	s_load_dwordx2 s[28:29], s[0:1], 0x0
	s_cselect_b64 s[0:1], -1, 0
	v_mul_lo_u32 v6, s49, v2
	v_mul_lo_u32 v7, s48, v3
	s_lshl_b64 s[4:5], s[46:47], 4
	v_add3_u32 v5, v5, v7, v6
	s_waitcnt lgkmcnt(0)
	s_add_u32 s2, s2, s4
	v_lshlrev_b64 v[4:5], 4, v[4:5]
	s_addc_u32 s3, s3, s5
	v_mov_b32_e32 v6, s3
	v_add_co_u32_e64 v4, s[2:3], s2, v4
	v_addc_co_u32_e64 v5, s[2:3], v6, v5, s[2:3]
	v_add_co_u32_e64 v8, s[2:3], 8, v4
	v_addc_co_u32_e64 v9, s[2:3], 0, v5, s[2:3]
	v_mad_u64_u32 v[4:5], s[2:3], s42, v0, 0
	s_lshl_b64 s[4:5], s[50:51], 4
	v_mul_lo_u32 v6, s43, v0
	v_mul_lo_u32 v7, s42, v1
	s_lshl_b64 s[2:3], s[38:39], 4
	v_add3_u32 v5, v5, v7, v6
	s_add_u32 s2, s28, s2
	v_lshlrev_b64 v[4:5], 4, v[4:5]
	s_addc_u32 s3, s29, s3
	v_mov_b32_e32 v6, s3
	v_add_co_u32_e64 v4, s[2:3], s2, v4
	v_addc_co_u32_e64 v5, s[2:3], v6, v5, s[2:3]
	v_add_co_u32_e64 v10, s[2:3], 8, v4
	v_addc_co_u32_e64 v11, s[2:3], 0, v5, s[2:3]
	s_lshl_b64 s[28:29], s[40:41], 4
	v_pk_mov_b32 v[4:5], 0, 0
	v_mov_b32_e32 v12, s5
	v_mov_b32_e32 v13, s29
	v_pk_mov_b32 v[6:7], v[4:5], v[4:5] op_sel:[0,1]
.LBB53_3:                               ; =>This Inner Loop Header: Depth=1
	global_load_dwordx4 v[14:17], v[8:9], off offset:-8
	global_load_dwordx4 v[18:21], v[10:11], off offset:-8
	v_add_co_u32_e64 v8, s[2:3], s4, v8
	s_add_u32 s16, s16, -1
	v_addc_co_u32_e64 v9, s[2:3], v9, v12, s[2:3]
	v_add_co_u32_e64 v10, s[2:3], s28, v10
	s_addc_u32 s17, s17, -1
	v_addc_co_u32_e64 v11, s[2:3], v11, v13, s[2:3]
	s_cmp_eq_u64 s[16:17], 0
	s_waitcnt vmcnt(1)
	v_xor_b32_e32 v22, 0x80000000, v17
	s_waitcnt vmcnt(0)
	v_xor_b32_e32 v23, 0x80000000, v21
	v_cndmask_b32_e32 v17, v17, v22, vcc
	v_cndmask_b32_e64 v21, v21, v23, s[0:1]
	v_mul_f64 v[22:23], v[16:17], v[20:21]
	v_mul_f64 v[16:17], v[16:17], v[18:19]
	v_fma_f64 v[18:19], v[14:15], v[18:19], -v[22:23]
	v_fmac_f64_e32 v[16:17], v[14:15], v[20:21]
	v_add_f64 v[6:7], v[6:7], v[18:19]
	v_add_f64 v[4:5], v[4:5], v[16:17]
	s_cbranch_scc0 .LBB53_3
.LBB53_4:
	s_waitcnt lgkmcnt(0)
	s_mul_i32 s0, s8, s11
	s_mul_hi_u32 s1, s8, s10
	s_add_i32 s1, s1, s0
	s_mul_i32 s0, s8, s10
	s_lshl_b64 s[0:1], s[0:1], 4
	s_add_u32 s2, s24, s0
	s_addc_u32 s3, s25, s1
	s_lshl_b64 s[0:1], s[26:27], 4
	s_add_u32 s2, s2, s0
	s_addc_u32 s3, s3, s1
	v_mul_lo_u32 v8, v3, s12
	v_mul_lo_u32 v9, v2, s13
	v_mad_u64_u32 v[2:3], s[0:1], v2, s12, 0
	v_add3_u32 v3, v3, v9, v8
	v_mul_lo_u32 v8, v1, s14
	v_mul_lo_u32 v9, v0, s15
	v_mad_u64_u32 v[0:1], s[0:1], v0, s14, 0
	v_lshlrev_b64 v[2:3], 4, v[2:3]
	v_add3_u32 v1, v1, v9, v8
	v_mov_b32_e32 v8, s3
	v_add_co_u32_e32 v2, vcc, s2, v2
	v_addc_co_u32_e32 v3, vcc, v8, v3, vcc
	v_lshlrev_b64 v[0:1], 4, v[0:1]
	v_add_co_u32_e32 v8, vcc, v2, v0
	v_addc_co_u32_e32 v9, vcc, v3, v1, vcc
	global_load_dwordx4 v[0:3], v[8:9], off
	v_mul_f64 v[10:11], s[6:7], v[4:5]
	v_mul_f64 v[4:5], s[18:19], v[4:5]
	v_fma_f64 v[10:11], s[18:19], v[6:7], -v[10:11]
	v_fmac_f64_e32 v[4:5], s[6:7], v[6:7]
	s_waitcnt vmcnt(0)
	v_mul_f64 v[6:7], s[22:23], v[2:3]
	v_mul_f64 v[2:3], s[20:21], v[2:3]
	v_fma_f64 v[6:7], s[20:21], v[0:1], -v[6:7]
	v_fmac_f64_e32 v[2:3], s[22:23], v[0:1]
	v_add_f64 v[0:1], v[10:11], v[6:7]
	v_add_f64 v[2:3], v[4:5], v[2:3]
	global_store_dwordx4 v[8:9], v[0:3], off
.LBB53_5:
	s_endpgm
	.section	.rodata,"a",@progbits
	.p2align	6, 0x0
	.amdhsa_kernel _ZN9rocsolver6v33100L11gemm_kernelI19rocblas_complex_numIdElS3_PKPS3_S6_S4_EEvT0_S7_S7_T1_bT2_lS7_S7_lbT3_lS7_S7_lS8_T4_lS7_S7_l
		.amdhsa_group_segment_fixed_size 0
		.amdhsa_private_segment_fixed_size 0
		.amdhsa_kernarg_size 448
		.amdhsa_user_sgpr_count 6
		.amdhsa_user_sgpr_private_segment_buffer 1
		.amdhsa_user_sgpr_dispatch_ptr 0
		.amdhsa_user_sgpr_queue_ptr 0
		.amdhsa_user_sgpr_kernarg_segment_ptr 1
		.amdhsa_user_sgpr_dispatch_id 0
		.amdhsa_user_sgpr_flat_scratch_init 0
		.amdhsa_user_sgpr_kernarg_preload_length 0
		.amdhsa_user_sgpr_kernarg_preload_offset 0
		.amdhsa_user_sgpr_private_segment_size 0
		.amdhsa_uses_dynamic_stack 0
		.amdhsa_system_sgpr_private_segment_wavefront_offset 0
		.amdhsa_system_sgpr_workgroup_id_x 1
		.amdhsa_system_sgpr_workgroup_id_y 1
		.amdhsa_system_sgpr_workgroup_id_z 1
		.amdhsa_system_sgpr_workgroup_info 0
		.amdhsa_system_vgpr_workitem_id 1
		.amdhsa_next_free_vgpr 24
		.amdhsa_next_free_sgpr 52
		.amdhsa_accum_offset 24
		.amdhsa_reserve_vcc 1
		.amdhsa_reserve_flat_scratch 0
		.amdhsa_float_round_mode_32 0
		.amdhsa_float_round_mode_16_64 0
		.amdhsa_float_denorm_mode_32 3
		.amdhsa_float_denorm_mode_16_64 3
		.amdhsa_dx10_clamp 1
		.amdhsa_ieee_mode 1
		.amdhsa_fp16_overflow 0
		.amdhsa_tg_split 0
		.amdhsa_exception_fp_ieee_invalid_op 0
		.amdhsa_exception_fp_denorm_src 0
		.amdhsa_exception_fp_ieee_div_zero 0
		.amdhsa_exception_fp_ieee_overflow 0
		.amdhsa_exception_fp_ieee_underflow 0
		.amdhsa_exception_fp_ieee_inexact 0
		.amdhsa_exception_int_div_zero 0
	.end_amdhsa_kernel
	.section	.text._ZN9rocsolver6v33100L11gemm_kernelI19rocblas_complex_numIdElS3_PKPS3_S6_S4_EEvT0_S7_S7_T1_bT2_lS7_S7_lbT3_lS7_S7_lS8_T4_lS7_S7_l,"axG",@progbits,_ZN9rocsolver6v33100L11gemm_kernelI19rocblas_complex_numIdElS3_PKPS3_S6_S4_EEvT0_S7_S7_T1_bT2_lS7_S7_lbT3_lS7_S7_lS8_T4_lS7_S7_l,comdat
.Lfunc_end53:
	.size	_ZN9rocsolver6v33100L11gemm_kernelI19rocblas_complex_numIdElS3_PKPS3_S6_S4_EEvT0_S7_S7_T1_bT2_lS7_S7_lbT3_lS7_S7_lS8_T4_lS7_S7_l, .Lfunc_end53-_ZN9rocsolver6v33100L11gemm_kernelI19rocblas_complex_numIdElS3_PKPS3_S6_S4_EEvT0_S7_S7_T1_bT2_lS7_S7_lbT3_lS7_S7_lS8_T4_lS7_S7_l
                                        ; -- End function
	.section	.AMDGPU.csdata,"",@progbits
; Kernel info:
; codeLenInByte = 852
; NumSgprs: 56
; NumVgprs: 24
; NumAgprs: 0
; TotalNumVgprs: 24
; ScratchSize: 0
; MemoryBound: 0
; FloatMode: 240
; IeeeMode: 1
; LDSByteSize: 0 bytes/workgroup (compile time only)
; SGPRBlocks: 6
; VGPRBlocks: 2
; NumSGPRsForWavesPerEU: 56
; NumVGPRsForWavesPerEU: 24
; AccumOffset: 24
; Occupancy: 8
; WaveLimiterHint : 0
; COMPUTE_PGM_RSRC2:SCRATCH_EN: 0
; COMPUTE_PGM_RSRC2:USER_SGPR: 6
; COMPUTE_PGM_RSRC2:TRAP_HANDLER: 0
; COMPUTE_PGM_RSRC2:TGID_X_EN: 1
; COMPUTE_PGM_RSRC2:TGID_Y_EN: 1
; COMPUTE_PGM_RSRC2:TGID_Z_EN: 1
; COMPUTE_PGM_RSRC2:TIDIG_COMP_CNT: 1
; COMPUTE_PGM_RSRC3_GFX90A:ACCUM_OFFSET: 5
; COMPUTE_PGM_RSRC3_GFX90A:TG_SPLIT: 0
	.section	.text._ZN9rocsolver6v33100L16mfma_gemm_kernelI19rocblas_complex_numIdElPKS3_PKPS3_S6_S6_EEv18rocblas_operation_S9_T0_SA_SA_T1_T2_lSA_SA_lT3_lSA_SA_lSB_T4_lSA_SA_l,"axG",@progbits,_ZN9rocsolver6v33100L16mfma_gemm_kernelI19rocblas_complex_numIdElPKS3_PKPS3_S6_S6_EEv18rocblas_operation_S9_T0_SA_SA_T1_T2_lSA_SA_lT3_lSA_SA_lSB_T4_lSA_SA_l,comdat
	.globl	_ZN9rocsolver6v33100L16mfma_gemm_kernelI19rocblas_complex_numIdElPKS3_PKPS3_S6_S6_EEv18rocblas_operation_S9_T0_SA_SA_T1_T2_lSA_SA_lT3_lSA_SA_lSB_T4_lSA_SA_l ; -- Begin function _ZN9rocsolver6v33100L16mfma_gemm_kernelI19rocblas_complex_numIdElPKS3_PKPS3_S6_S6_EEv18rocblas_operation_S9_T0_SA_SA_T1_T2_lSA_SA_lT3_lSA_SA_lSB_T4_lSA_SA_l
	.p2align	8
	.type	_ZN9rocsolver6v33100L16mfma_gemm_kernelI19rocblas_complex_numIdElPKS3_PKPS3_S6_S6_EEv18rocblas_operation_S9_T0_SA_SA_T1_T2_lSA_SA_lT3_lSA_SA_lSB_T4_lSA_SA_l,@function
_ZN9rocsolver6v33100L16mfma_gemm_kernelI19rocblas_complex_numIdElPKS3_PKPS3_S6_S6_EEv18rocblas_operation_S9_T0_SA_SA_T1_T2_lSA_SA_lT3_lSA_SA_lSB_T4_lSA_SA_l: ; @_ZN9rocsolver6v33100L16mfma_gemm_kernelI19rocblas_complex_numIdElPKS3_PKPS3_S6_S6_EEv18rocblas_operation_S9_T0_SA_SA_T1_T2_lSA_SA_lT3_lSA_SA_lSB_T4_lSA_SA_l
; %bb.0:
	s_load_dword s0, s[4:5], 0xb4
	s_load_dwordx16 s[36:51], s[4:5], 0x8
	v_and_b32_e32 v4, 0x3ff, v0
	v_mov_b32_e32 v9, 0
	v_lshrrev_b32_e32 v8, 6, v4
	s_waitcnt lgkmcnt(0)
	s_lshr_b32 s2, s0, 16
	s_bfe_u32 s0, s0, 0xa0006
	v_bfe_u32 v0, v0, 10, 10
	v_mov_b32_e32 v1, v9
	v_mov_b32_e32 v2, s6
	;; [unrolled: 1-line block ×3, first 2 shown]
	v_mad_u64_u32 v[2:3], s[0:1], s0, v2, v[8:9]
	v_mad_u64_u32 v[0:1], s[0:1], s2, v5, v[0:1]
	v_lshlrev_b64 v[12:13], 4, v[2:3]
	v_lshlrev_b64 v[14:15], 4, v[0:1]
	v_cmp_gt_i64_e32 vcc, s[36:37], v[12:13]
	v_cmp_gt_i64_e64 s[0:1], s[38:39], v[14:15]
	s_and_b64 s[0:1], vcc, s[0:1]
	s_and_saveexec_b64 s[2:3], s[0:1]
	s_cbranch_execz .LBB54_36
; %bb.1:
	v_add_co_u32_e32 v6, vcc, 16, v12
	s_load_dwordx16 s[16:31], s[4:5], 0x50
	v_addc_co_u32_e32 v7, vcc, 0, v13, vcc
	s_and_b32 s0, s36, 15
	v_mov_b32_e32 v5, s0
	v_cmp_lt_u64_e32 vcc, s[36:37], v[6:7]
	v_cndmask_b32_e32 v8, 16, v5, vcc
	v_add_co_u32_e32 v6, vcc, 16, v14
	v_addc_co_u32_e32 v7, vcc, 0, v15, vcc
	s_and_b32 s0, s38, 15
	v_cmp_lt_u64_e32 vcc, s[38:39], v[6:7]
	s_load_dwordx4 s[52:55], s[42:43], 0x0
	s_waitcnt lgkmcnt(0)
	s_load_dwordx4 s[36:39], s[26:27], 0x0
	v_mov_b32_e32 v5, s0
	v_cndmask_b32_e32 v16, 16, v5, vcc
	v_mov_b32_e32 v17, v9
	v_bfe_u32 v18, v4, 2, 4
	v_mov_b32_e32 v19, v9
	v_cmp_lt_i64_e64 s[0:1], s[40:41], 1
	v_pk_mov_b32 v[36:37], 0, 0
	s_mov_b32 s9, 0
	v_and_b32_e32 v29, 63, v4
	v_and_b32_e32 v10, 3, v4
	v_mov_b32_e32 v11, v9
	s_mov_b64 s[26:27], 0
	s_and_b64 vcc, exec, s[0:1]
	v_cmp_lt_u64_e64 s[0:1], v[18:19], v[16:17]
	v_mbcnt_lo_u32_b32 v46, -1, 0
	v_pk_mov_b32 v[38:39], v[36:37], v[36:37] op_sel:[0,1]
	v_pk_mov_b32 v[20:21], v[36:37], v[36:37] op_sel:[0,1]
	;; [unrolled: 1-line block ×7, first 2 shown]
	s_cbranch_vccnz .LBB54_28
; %bb.2:
	s_load_dwordx2 s[14:15], s[4:5], 0x0
	v_mov_b32_e32 v5, 0
	v_and_b32_e32 v4, 15, v29
	v_lshrrev_b32_e32 v28, 4, v29
	v_cmp_lt_u64_e64 s[6:7], v[4:5], v[8:9]
	s_waitcnt lgkmcnt(0)
	s_cmpk_lg_i32 s14, 0x6f
	s_cselect_b64 s[34:35], -1, 0
	s_cmpk_lg_i32 s15, 0x6f
	s_cselect_b64 s[42:43], -1, 0
	s_cmpk_eq_i32 s15, 0x6f
	s_cselect_b32 s33, s22, s20
	s_cselect_b32 s58, s23, s21
	s_lshl_b64 s[2:3], s[8:9], 3
	s_add_u32 s2, s44, s2
	s_addc_u32 s3, s45, s3
	s_cmpk_eq_i32 s14, 0x6f
	s_cselect_b32 s9, s48, s50
	s_cselect_b32 s56, s49, s51
	v_cmp_lt_u64_e64 s[10:11], v[4:5], v[16:17]
	v_mul_lo_u32 v5, s56, v2
	v_mul_lo_u32 v6, s9, v3
	v_mad_u64_u32 v[2:3], s[56:57], s9, v2, 0
	v_add3_u32 v3, v3, v6, v5
	v_mad_u64_u32 v[6:7], s[56:57], s50, v28, 0
	v_mov_b32_e32 v20, v7
	v_mad_u64_u32 v[20:21], s[56:57], s51, v28, v[20:21]
	v_mov_b32_e32 v7, v20
	v_lshlrev_b64 v[2:3], 8, v[2:3]
	v_lshlrev_b64 v[6:7], 4, v[6:7]
	v_add_co_u32_e32 v5, vcc, v2, v6
	s_load_dwordx2 s[44:45], s[2:3], 0x0
	v_addc_co_u32_e32 v23, vcc, v3, v7, vcc
	v_mad_u64_u32 v[6:7], s[56:57], s48, v4, 0
	v_mov_b32_e32 v20, v7
	s_cmpk_eq_i32 s14, 0x71
	v_mad_u64_u32 v[20:21], s[56:57], s49, v4, v[20:21]
	s_cselect_b64 s[12:13], -1, 0
	s_cmpk_eq_i32 s15, 0x71
	v_mov_b32_e32 v7, v20
	s_cselect_b64 s[14:15], -1, 0
	v_lshlrev_b64 v[6:7], 4, v[6:7]
	s_lshl_b64 s[46:47], s[46:47], 4
	v_add_co_u32_e32 v5, vcc, v5, v6
	s_waitcnt lgkmcnt(0)
	s_add_u32 s9, s44, s46
	v_addc_co_u32_e32 v6, vcc, v23, v7, vcc
	s_addc_u32 s56, s45, s47
	v_mov_b32_e32 v7, s56
	v_add_co_u32_e32 v5, vcc, s9, v5
	v_addc_co_u32_e32 v6, vcc, v7, v6, vcc
	v_add_co_u32_e32 v34, vcc, 8, v5
	v_addc_co_u32_e32 v35, vcc, 0, v6, vcc
	v_mul_lo_u32 v5, s58, v0
	v_mul_lo_u32 v6, s33, v1
	v_mad_u64_u32 v[0:1], s[46:47], s33, v0, 0
	v_add3_u32 v1, v1, v6, v5
	v_mad_u64_u32 v[6:7], s[46:47], s22, v28, 0
	v_mov_b32_e32 v20, v7
	v_mad_u64_u32 v[20:21], s[46:47], s23, v28, v[20:21]
	v_mov_b32_e32 v7, v20
	v_lshlrev_b64 v[0:1], 8, v[0:1]
	v_lshlrev_b64 v[6:7], 4, v[6:7]
	s_mul_i32 s25, s25, s8
	s_mul_hi_u32 s33, s24, s8
	v_add_co_u32_e32 v5, vcc, v0, v6
	s_add_i32 s25, s33, s25
	s_mul_i32 s24, s24, s8
	v_addc_co_u32_e32 v6, vcc, v1, v7, vcc
	s_lshl_b64 s[46:47], s[24:25], 4
	v_mov_b32_e32 v21, s47
	v_add_co_u32_e32 v23, vcc, s46, v5
	v_addc_co_u32_e32 v24, vcc, v6, v21, vcc
	v_mad_u64_u32 v[6:7], s[24:25], s20, v4, 0
	v_mov_b32_e32 v20, v7
	v_lshl_or_b32 v22, v4, 2, v28
	v_mad_u64_u32 v[4:5], s[24:25], s21, v4, v[20:21]
	v_mov_b32_e32 v7, v4
	s_lshl_b64 s[44:45], s[50:51], 6
	v_lshlrev_b64 v[4:5], 4, v[6:7]
	s_lshl_b64 s[18:19], s[18:19], 4
	v_add_co_u32_e32 v4, vcc, v23, v4
	s_add_u32 s33, s16, s18
	v_addc_co_u32_e32 v5, vcc, v24, v5, vcc
	s_addc_u32 s47, s17, s19
	v_mov_b32_e32 v6, s47
	v_add_co_u32_e32 v4, vcc, s33, v4
	v_addc_co_u32_e32 v5, vcc, v6, v5, vcc
	v_add_co_u32_e32 v40, vcc, 8, v4
	v_addc_co_u32_e32 v41, vcc, 0, v5, vcc
	v_mad_u64_u32 v[4:5], s[16:17], s50, v18, 0
	v_mov_b32_e32 v6, v5
	v_mad_u64_u32 v[6:7], s[16:17], s51, v18, v[6:7]
	v_mov_b32_e32 v5, v6
	v_lshlrev_b64 v[4:5], 4, v[4:5]
	v_add_co_u32_e32 v6, vcc, v2, v4
	v_addc_co_u32_e32 v7, vcc, v3, v5, vcc
	v_mad_u64_u32 v[2:3], s[16:17], s48, v10, 0
	v_mov_b32_e32 v4, v3
	v_mad_u64_u32 v[4:5], s[16:17], s49, v10, v[4:5]
	v_mov_b32_e32 v3, v4
	v_lshlrev_b64 v[2:3], 4, v[2:3]
	v_add_co_u32_e32 v2, vcc, v6, v2
	v_addc_co_u32_e32 v3, vcc, v7, v3, vcc
	v_mov_b32_e32 v4, s56
	v_add_co_u32_e32 v2, vcc, s9, v2
	v_addc_co_u32_e32 v3, vcc, v4, v3, vcc
	v_add_co_u32_e32 v42, vcc, 8, v2
	v_addc_co_u32_e32 v43, vcc, 0, v3, vcc
	v_mad_u64_u32 v[2:3], s[16:17], s22, v18, 0
	v_mov_b32_e32 v4, v3
	v_mad_u64_u32 v[4:5], s[16:17], s23, v18, v[4:5]
	v_mov_b32_e32 v3, v4
	v_lshlrev_b64 v[2:3], 4, v[2:3]
	v_add_co_u32_e32 v0, vcc, v0, v2
	v_addc_co_u32_e32 v1, vcc, v1, v3, vcc
	v_add_co_u32_e32 v4, vcc, s46, v0
	v_addc_co_u32_e32 v5, vcc, v1, v21, vcc
	v_mad_u64_u32 v[0:1], s[16:17], s20, v10, 0
	v_mov_b32_e32 v2, v1
	v_mad_u64_u32 v[2:3], s[16:17], s21, v10, v[2:3]
	v_mov_b32_e32 v1, v2
	v_lshlrev_b64 v[0:1], 4, v[0:1]
	v_add_co_u32_e32 v0, vcc, v4, v0
	v_addc_co_u32_e32 v1, vcc, v5, v1, vcc
	v_mov_b32_e32 v2, s47
	v_add_co_u32_e32 v0, vcc, s33, v0
	v_addc_co_u32_e32 v1, vcc, v2, v1, vcc
	v_add_co_u32_e32 v44, vcc, 8, v0
	v_mbcnt_hi_u32_b32 v0, -1, v46
	v_pk_mov_b32 v[20:21], 0, 0
	v_and_or_b32 v0, v0, 64, v22
	v_cmp_lt_u64_e64 s[2:3], v[18:19], v[8:9]
	s_lshl_b64 s[18:19], s[22:23], 6
	s_lshl_b64 s[24:25], s[48:49], 6
	v_addc_co_u32_e32 v45, vcc, 0, v1, vcc
	s_lshl_b64 s[20:21], s[20:21], 6
	v_lshlrev_b32_e32 v47, 2, v0
	v_pk_mov_b32 v[24:25], v[20:21], v[20:21] op_sel:[0,1]
	v_pk_mov_b32 v[30:31], v[20:21], v[20:21] op_sel:[0,1]
	;; [unrolled: 1-line block ×7, first 2 shown]
	s_branch .LBB54_6
.LBB54_3:                               ;   in Loop: Header=BB54_6 Depth=1
	s_or_b64 exec, exec, s[22:23]
.LBB54_4:                               ;   in Loop: Header=BB54_6 Depth=1
	s_or_b64 exec, exec, s[16:17]
	s_waitcnt vmcnt(0)
	ds_bpermute_b32 v4, v47, v4
	ds_bpermute_b32 v5, v47, v5
	;; [unrolled: 1-line block ×4, first 2 shown]
.LBB54_5:                               ;   in Loop: Header=BB54_6 Depth=1
	s_waitcnt vmcnt(0) lgkmcnt(0)
	v_xor_b32_e32 v48, 0x80000000, v3
	v_cndmask_b32_e64 v3, v3, v48, s[12:13]
	v_cndmask_b32_e64 v2, v2, v2, s[12:13]
	v_xor_b32_e32 v48, 0x80000000, v7
	v_cndmask_b32_e64 v7, v7, v48, s[14:15]
	v_cndmask_b32_e64 v6, v6, v6, s[14:15]
	v_mfma_f64_16x16x4f64 v[48:55], v[0:1], v[4:5], 0
	s_add_u32 s26, s26, 4
	s_addc_u32 s27, s27, 0
	v_add_co_u32_e64 v34, s[16:17], s44, v34
	v_mfma_f64_16x16x4f64 v[56:63], v[2:3], v[6:7], 0
	s_nop 7
	s_nop 2
	v_add_f64 v[54:55], v[54:55], -v[62:63]
	v_pk_mov_b32 v[62:63], s[40:41], s[40:41] op_sel:[0,1]
	v_cmp_ge_i64_e32 vcc, s[26:27], v[62:63]
	v_mfma_f64_16x16x4f64 v[62:69], v[0:1], v[6:7], 0
	s_and_b64 vcc, exec, vcc
	v_add_f64 v[52:53], v[52:53], -v[60:61]
	v_add_f64 v[50:51], v[50:51], -v[58:59]
	;; [unrolled: 1-line block ×3, first 2 shown]
	v_add_f64 v[36:37], v[36:37], v[48:49]
	v_add_f64 v[32:33], v[32:33], v[50:51]
	v_add_f64 v[26:27], v[26:27], v[52:53]
	v_add_f64 v[22:23], v[22:23], v[54:55]
	v_mfma_f64_16x16x4f64 v[0:7], v[2:3], v[4:5], 0
	s_nop 7
	s_nop 2
	v_add_f64 v[0:1], v[62:63], v[0:1]
	v_add_f64 v[38:39], v[38:39], v[0:1]
	v_mov_b32_e32 v0, s45
	v_addc_co_u32_e64 v35, s[16:17], v35, v0, s[16:17]
	v_mov_b32_e32 v0, s19
	v_add_co_u32_e64 v40, s[16:17], s18, v40
	v_addc_co_u32_e64 v41, s[16:17], v41, v0, s[16:17]
	v_mov_b32_e32 v0, s25
	v_add_co_u32_e64 v42, s[16:17], s24, v42
	v_addc_co_u32_e64 v43, s[16:17], v43, v0, s[16:17]
	v_add_f64 v[6:7], v[68:69], v[6:7]
	v_add_f64 v[4:5], v[66:67], v[4:5]
	;; [unrolled: 1-line block ×3, first 2 shown]
	v_mov_b32_e32 v0, s21
	v_add_co_u32_e64 v44, s[16:17], s20, v44
	v_add_f64 v[30:31], v[30:31], v[2:3]
	v_add_f64 v[24:25], v[24:25], v[4:5]
	;; [unrolled: 1-line block ×3, first 2 shown]
	v_addc_co_u32_e64 v45, s[16:17], v45, v0, s[16:17]
	s_cbranch_vccnz .LBB54_28
.LBB54_6:                               ; =>This Inner Loop Header: Depth=1
	s_and_b64 vcc, exec, s[34:35]
	s_cbranch_vccz .LBB54_18
; %bb.7:                                ;   in Loop: Header=BB54_6 Depth=1
	v_pk_mov_b32 v[0:1], 0, 0
	s_mov_b64 s[16:17], 0
	v_pk_mov_b32 v[2:3], v[0:1], v[0:1] op_sel:[0,1]
	s_and_saveexec_b64 s[22:23], s[2:3]
	s_cbranch_execz .LBB54_11
; %bb.8:                                ;   in Loop: Header=BB54_6 Depth=1
	v_mov_b32_e32 v1, s27
	v_add_co_u32_e32 v0, vcc, s26, v10
	v_addc_co_u32_e32 v1, vcc, 0, v1, vcc
	v_pk_mov_b32 v[2:3], 0, 0
	v_cmp_gt_i64_e32 vcc, s[40:41], v[0:1]
	v_pk_mov_b32 v[0:1], v[2:3], v[2:3] op_sel:[0,1]
	s_and_saveexec_b64 s[46:47], vcc
	s_cbranch_execz .LBB54_10
; %bb.9:                                ;   in Loop: Header=BB54_6 Depth=1
	global_load_dwordx4 v[0:3], v[42:43], off offset:-8
.LBB54_10:                              ;   in Loop: Header=BB54_6 Depth=1
	s_or_b64 exec, exec, s[46:47]
.LBB54_11:                              ;   in Loop: Header=BB54_6 Depth=1
	s_or_b64 exec, exec, s[22:23]
	s_waitcnt vmcnt(0)
	ds_bpermute_b32 v0, v47, v0
	ds_bpermute_b32 v1, v47, v1
	;; [unrolled: 1-line block ×4, first 2 shown]
	s_and_b64 vcc, exec, s[16:17]
	s_cbranch_vccnz .LBB54_19
.LBB54_12:                              ;   in Loop: Header=BB54_6 Depth=1
	s_and_b64 vcc, exec, s[42:43]
	s_cbranch_vccz .LBB54_24
.LBB54_13:                              ;   in Loop: Header=BB54_6 Depth=1
	v_pk_mov_b32 v[6:7], 0, 0
	s_mov_b64 s[16:17], 0
	v_pk_mov_b32 v[4:5], v[6:7], v[6:7] op_sel:[0,1]
	s_and_saveexec_b64 s[22:23], s[10:11]
	s_cbranch_execz .LBB54_17
; %bb.14:                               ;   in Loop: Header=BB54_6 Depth=1
	v_mov_b32_e32 v5, s27
	v_add_co_u32_e32 v4, vcc, s26, v28
	v_addc_co_u32_e32 v5, vcc, 0, v5, vcc
	v_pk_mov_b32 v[6:7], 0, 0
	v_cmp_gt_i64_e32 vcc, s[40:41], v[4:5]
	v_pk_mov_b32 v[4:5], v[6:7], v[6:7] op_sel:[0,1]
	s_and_saveexec_b64 s[46:47], vcc
	s_cbranch_execz .LBB54_16
; %bb.15:                               ;   in Loop: Header=BB54_6 Depth=1
	global_load_dwordx4 v[4:7], v[40:41], off offset:-8
.LBB54_16:                              ;   in Loop: Header=BB54_6 Depth=1
	s_or_b64 exec, exec, s[46:47]
.LBB54_17:                              ;   in Loop: Header=BB54_6 Depth=1
	s_or_b64 exec, exec, s[22:23]
	s_andn2_b64 vcc, exec, s[16:17]
	s_cbranch_vccnz .LBB54_5
	s_branch .LBB54_25
.LBB54_18:                              ;   in Loop: Header=BB54_6 Depth=1
                                        ; implicit-def: $vgpr2_vgpr3
	s_cbranch_execz .LBB54_12
.LBB54_19:                              ;   in Loop: Header=BB54_6 Depth=1
	s_waitcnt lgkmcnt(0)
	v_pk_mov_b32 v[2:3], 0, 0
	v_pk_mov_b32 v[0:1], v[2:3], v[2:3] op_sel:[0,1]
	s_and_saveexec_b64 s[16:17], s[6:7]
	s_cbranch_execz .LBB54_23
; %bb.20:                               ;   in Loop: Header=BB54_6 Depth=1
	v_mov_b32_e32 v1, s27
	v_add_co_u32_e32 v0, vcc, s26, v28
	v_addc_co_u32_e32 v1, vcc, 0, v1, vcc
	v_pk_mov_b32 v[2:3], 0, 0
	v_cmp_gt_i64_e32 vcc, s[40:41], v[0:1]
	v_pk_mov_b32 v[0:1], v[2:3], v[2:3] op_sel:[0,1]
	s_and_saveexec_b64 s[22:23], vcc
	s_cbranch_execz .LBB54_22
; %bb.21:                               ;   in Loop: Header=BB54_6 Depth=1
	global_load_dwordx4 v[0:3], v[34:35], off offset:-8
.LBB54_22:                              ;   in Loop: Header=BB54_6 Depth=1
	s_or_b64 exec, exec, s[22:23]
.LBB54_23:                              ;   in Loop: Header=BB54_6 Depth=1
	s_or_b64 exec, exec, s[16:17]
	s_and_b64 vcc, exec, s[42:43]
	s_cbranch_vccnz .LBB54_13
.LBB54_24:                              ;   in Loop: Header=BB54_6 Depth=1
                                        ; implicit-def: $vgpr6_vgpr7
.LBB54_25:                              ;   in Loop: Header=BB54_6 Depth=1
	s_waitcnt vmcnt(0)
	v_pk_mov_b32 v[4:5], 0, 0
	v_pk_mov_b32 v[6:7], v[4:5], v[4:5] op_sel:[0,1]
	s_and_saveexec_b64 s[16:17], s[0:1]
	s_cbranch_execz .LBB54_4
; %bb.26:                               ;   in Loop: Header=BB54_6 Depth=1
	v_mov_b32_e32 v5, s27
	v_add_co_u32_e32 v4, vcc, s26, v10
	v_addc_co_u32_e32 v5, vcc, 0, v5, vcc
	v_pk_mov_b32 v[6:7], 0, 0
	v_cmp_gt_i64_e32 vcc, s[40:41], v[4:5]
	v_pk_mov_b32 v[4:5], v[6:7], v[6:7] op_sel:[0,1]
	s_and_saveexec_b64 s[22:23], vcc
	s_cbranch_execz .LBB54_3
; %bb.27:                               ;   in Loop: Header=BB54_6 Depth=1
	global_load_dwordx4 v[4:7], v[44:45], off offset:-8
	s_branch .LBB54_3
.LBB54_28:
	s_load_dwordx2 s[0:1], s[4:5], 0xa0
	s_load_dwordx4 s[12:15], s[4:5], 0x90
	s_waitcnt lgkmcnt(0)
	s_mul_i32 s1, s8, s1
	s_mul_hi_u32 s2, s8, s0
	s_mul_i32 s0, s8, s0
	s_add_i32 s1, s2, s1
	s_lshl_b64 s[0:1], s[0:1], 4
	s_add_u32 s2, s28, s0
	s_addc_u32 s3, s29, s1
	s_lshl_b64 s[0:1], s[30:31], 4
	s_add_u32 s2, s2, s0
	s_addc_u32 s3, s3, s1
	v_mul_lo_u32 v2, v15, s14
	v_mul_lo_u32 v3, v14, s15
	v_mad_u64_u32 v[0:1], s[0:1], v14, s14, 0
	v_add3_u32 v1, v1, v3, v2
	v_mul_lo_u32 v4, v13, s12
	v_mul_lo_u32 v5, v12, s13
	v_mad_u64_u32 v[2:3], s[0:1], v12, s12, 0
	v_lshlrev_b64 v[0:1], 4, v[0:1]
	v_add3_u32 v3, v3, v5, v4
	v_mov_b32_e32 v4, s3
	v_add_co_u32_e32 v5, vcc, s2, v0
	v_addc_co_u32_e32 v4, vcc, v4, v1, vcc
	v_lshlrev_b64 v[0:1], 4, v[2:3]
	v_add_co_u32_e32 v6, vcc, v5, v0
	v_lshl_or_b32 v0, v29, 4, v18
	v_addc_co_u32_e32 v7, vcc, v4, v1, vcc
	v_mbcnt_hi_u32_b32 v1, -1, v46
	v_and_b32_e32 v0, 63, v0
	v_and_or_b32 v0, v1, 64, v0
	v_lshlrev_b32_e32 v12, 2, v0
	v_mad_u64_u32 v[0:1], s[0:1], v18, s14, 0
	v_mov_b32_e32 v2, v1
	v_mad_u64_u32 v[2:3], s[0:1], v18, s15, v[2:3]
	v_mov_b32_e32 v1, v2
	v_lshlrev_b64 v[4:5], 4, v[0:1]
	ds_bpermute_b32 v0, v12, v36
	ds_bpermute_b32 v1, v12, v37
	;; [unrolled: 1-line block ×4, first 2 shown]
	v_add_co_u32_e64 v6, s[0:1], v6, v4
	v_addc_co_u32_e64 v7, s[0:1], v7, v5, s[0:1]
	v_cmp_lt_u64_e32 vcc, v[18:19], v[16:17]
	v_cmp_lt_u64_e64 s[0:1], v[10:11], v[8:9]
	s_and_b64 s[0:1], vcc, s[0:1]
	s_and_saveexec_b64 s[2:3], s[0:1]
	s_cbranch_execz .LBB54_30
; %bb.29:
	v_mad_u64_u32 v[4:5], s[0:1], v10, s12, 0
	v_mov_b32_e32 v14, v5
	v_mad_u64_u32 v[14:15], s[0:1], v10, s13, v[14:15]
	v_mov_b32_e32 v5, v14
	v_lshlrev_b64 v[4:5], 4, v[4:5]
	v_add_co_u32_e64 v4, s[0:1], v6, v4
	v_addc_co_u32_e64 v5, s[0:1], v7, v5, s[0:1]
	global_load_dwordx4 v[14:17], v[4:5], off
	s_waitcnt lgkmcnt(0)
	v_mul_f64 v[18:19], s[54:55], v[2:3]
	v_mul_f64 v[2:3], s[52:53], v[2:3]
	v_fma_f64 v[18:19], s[52:53], v[0:1], -v[18:19]
	v_fmac_f64_e32 v[2:3], s[54:55], v[0:1]
	s_waitcnt vmcnt(0)
	v_mul_f64 v[0:1], s[38:39], v[16:17]
	v_mul_f64 v[16:17], s[36:37], v[16:17]
	v_fma_f64 v[0:1], s[36:37], v[14:15], -v[0:1]
	v_fmac_f64_e32 v[16:17], s[38:39], v[14:15]
	v_add_f64 v[0:1], v[18:19], v[0:1]
	v_add_f64 v[2:3], v[2:3], v[16:17]
	global_store_dwordx4 v[4:5], v[0:3], off
.LBB54_30:
	s_or_b64 exec, exec, s[2:3]
	s_waitcnt lgkmcnt(3)
	ds_bpermute_b32 v0, v12, v32
	s_waitcnt lgkmcnt(3)
	ds_bpermute_b32 v1, v12, v33
	s_waitcnt lgkmcnt(3)
	ds_bpermute_b32 v2, v12, v30
	s_waitcnt lgkmcnt(3)
	ds_bpermute_b32 v3, v12, v31
	v_or_b32_e32 v4, 4, v10
	v_mov_b32_e32 v5, v11
	v_cmp_lt_u64_e64 s[0:1], v[4:5], v[8:9]
	s_and_b64 s[0:1], vcc, s[0:1]
	s_and_saveexec_b64 s[2:3], s[0:1]
	s_cbranch_execz .LBB54_32
; %bb.31:
	v_mad_u64_u32 v[14:15], s[0:1], v4, s12, 0
	v_mov_b32_e32 v16, v15
	v_mad_u64_u32 v[4:5], s[0:1], v4, s13, v[16:17]
	v_mov_b32_e32 v15, v4
	v_lshlrev_b64 v[4:5], 4, v[14:15]
	v_add_co_u32_e64 v4, s[0:1], v6, v4
	v_addc_co_u32_e64 v5, s[0:1], v7, v5, s[0:1]
	global_load_dwordx4 v[14:17], v[4:5], off
	s_waitcnt lgkmcnt(0)
	v_mul_f64 v[18:19], s[54:55], v[2:3]
	v_mul_f64 v[2:3], s[52:53], v[2:3]
	v_fma_f64 v[18:19], s[52:53], v[0:1], -v[18:19]
	v_fmac_f64_e32 v[2:3], s[54:55], v[0:1]
	s_waitcnt vmcnt(0)
	v_mul_f64 v[0:1], s[38:39], v[16:17]
	v_mul_f64 v[16:17], s[36:37], v[16:17]
	v_fma_f64 v[0:1], s[36:37], v[14:15], -v[0:1]
	v_fmac_f64_e32 v[16:17], s[38:39], v[14:15]
	v_add_f64 v[0:1], v[18:19], v[0:1]
	v_add_f64 v[2:3], v[2:3], v[16:17]
	global_store_dwordx4 v[4:5], v[0:3], off
.LBB54_32:
	s_or_b64 exec, exec, s[2:3]
	s_waitcnt lgkmcnt(3)
	ds_bpermute_b32 v0, v12, v26
	s_waitcnt lgkmcnt(3)
	ds_bpermute_b32 v1, v12, v27
	;; [unrolled: 2-line block ×4, first 2 shown]
	v_or_b32_e32 v4, 8, v10
	v_mov_b32_e32 v5, v11
	v_cmp_lt_u64_e64 s[0:1], v[4:5], v[8:9]
	s_and_b64 s[0:1], vcc, s[0:1]
	s_and_saveexec_b64 s[2:3], s[0:1]
	s_cbranch_execz .LBB54_34
; %bb.33:
	v_mad_u64_u32 v[14:15], s[0:1], v4, s12, 0
	v_mov_b32_e32 v16, v15
	v_mad_u64_u32 v[4:5], s[0:1], v4, s13, v[16:17]
	v_mov_b32_e32 v15, v4
	v_lshlrev_b64 v[4:5], 4, v[14:15]
	v_add_co_u32_e64 v4, s[0:1], v6, v4
	v_addc_co_u32_e64 v5, s[0:1], v7, v5, s[0:1]
	global_load_dwordx4 v[14:17], v[4:5], off
	s_waitcnt lgkmcnt(0)
	v_mul_f64 v[18:19], s[54:55], v[2:3]
	v_mul_f64 v[2:3], s[52:53], v[2:3]
	v_fma_f64 v[18:19], s[52:53], v[0:1], -v[18:19]
	v_fmac_f64_e32 v[2:3], s[54:55], v[0:1]
	s_waitcnt vmcnt(0)
	v_mul_f64 v[0:1], s[38:39], v[16:17]
	v_mul_f64 v[16:17], s[36:37], v[16:17]
	v_fma_f64 v[0:1], s[36:37], v[14:15], -v[0:1]
	v_fmac_f64_e32 v[16:17], s[38:39], v[14:15]
	v_add_f64 v[0:1], v[18:19], v[0:1]
	v_add_f64 v[2:3], v[2:3], v[16:17]
	global_store_dwordx4 v[4:5], v[0:3], off
.LBB54_34:
	s_or_b64 exec, exec, s[2:3]
	s_waitcnt lgkmcnt(3)
	ds_bpermute_b32 v0, v12, v22
	s_waitcnt lgkmcnt(3)
	ds_bpermute_b32 v1, v12, v23
	s_waitcnt lgkmcnt(3)
	ds_bpermute_b32 v2, v12, v20
	s_waitcnt lgkmcnt(3)
	ds_bpermute_b32 v3, v12, v21
	v_or_b32_e32 v10, 12, v10
	v_cmp_lt_u64_e64 s[0:1], v[10:11], v[8:9]
	s_and_b64 s[0:1], vcc, s[0:1]
	s_and_b64 exec, exec, s[0:1]
	s_cbranch_execz .LBB54_36
; %bb.35:
	v_mad_u64_u32 v[4:5], s[0:1], v10, s12, 0
	v_mov_b32_e32 v8, v5
	v_mad_u64_u32 v[8:9], s[0:1], v10, s13, v[8:9]
	v_mov_b32_e32 v5, v8
	v_lshlrev_b64 v[4:5], 4, v[4:5]
	v_add_co_u32_e32 v8, vcc, v6, v4
	v_addc_co_u32_e32 v9, vcc, v7, v5, vcc
	global_load_dwordx4 v[4:7], v[8:9], off
	s_waitcnt lgkmcnt(0)
	v_mul_f64 v[10:11], s[54:55], v[2:3]
	v_mul_f64 v[2:3], s[52:53], v[2:3]
	v_fma_f64 v[10:11], s[52:53], v[0:1], -v[10:11]
	v_fmac_f64_e32 v[2:3], s[54:55], v[0:1]
	s_waitcnt vmcnt(0)
	v_mul_f64 v[0:1], s[38:39], v[6:7]
	v_mul_f64 v[6:7], s[36:37], v[6:7]
	v_fma_f64 v[0:1], s[36:37], v[4:5], -v[0:1]
	v_fmac_f64_e32 v[6:7], s[38:39], v[4:5]
	v_add_f64 v[0:1], v[10:11], v[0:1]
	v_add_f64 v[2:3], v[2:3], v[6:7]
	global_store_dwordx4 v[8:9], v[0:3], off
.LBB54_36:
	s_endpgm
	.section	.rodata,"a",@progbits
	.p2align	6, 0x0
	.amdhsa_kernel _ZN9rocsolver6v33100L16mfma_gemm_kernelI19rocblas_complex_numIdElPKS3_PKPS3_S6_S6_EEv18rocblas_operation_S9_T0_SA_SA_T1_T2_lSA_SA_lT3_lSA_SA_lSB_T4_lSA_SA_l
		.amdhsa_group_segment_fixed_size 0
		.amdhsa_private_segment_fixed_size 0
		.amdhsa_kernarg_size 424
		.amdhsa_user_sgpr_count 6
		.amdhsa_user_sgpr_private_segment_buffer 1
		.amdhsa_user_sgpr_dispatch_ptr 0
		.amdhsa_user_sgpr_queue_ptr 0
		.amdhsa_user_sgpr_kernarg_segment_ptr 1
		.amdhsa_user_sgpr_dispatch_id 0
		.amdhsa_user_sgpr_flat_scratch_init 0
		.amdhsa_user_sgpr_kernarg_preload_length 0
		.amdhsa_user_sgpr_kernarg_preload_offset 0
		.amdhsa_user_sgpr_private_segment_size 0
		.amdhsa_uses_dynamic_stack 0
		.amdhsa_system_sgpr_private_segment_wavefront_offset 0
		.amdhsa_system_sgpr_workgroup_id_x 1
		.amdhsa_system_sgpr_workgroup_id_y 1
		.amdhsa_system_sgpr_workgroup_id_z 1
		.amdhsa_system_sgpr_workgroup_info 0
		.amdhsa_system_vgpr_workitem_id 1
		.amdhsa_next_free_vgpr 70
		.amdhsa_next_free_sgpr 59
		.amdhsa_accum_offset 72
		.amdhsa_reserve_vcc 1
		.amdhsa_reserve_flat_scratch 0
		.amdhsa_float_round_mode_32 0
		.amdhsa_float_round_mode_16_64 0
		.amdhsa_float_denorm_mode_32 3
		.amdhsa_float_denorm_mode_16_64 3
		.amdhsa_dx10_clamp 1
		.amdhsa_ieee_mode 1
		.amdhsa_fp16_overflow 0
		.amdhsa_tg_split 0
		.amdhsa_exception_fp_ieee_invalid_op 0
		.amdhsa_exception_fp_denorm_src 0
		.amdhsa_exception_fp_ieee_div_zero 0
		.amdhsa_exception_fp_ieee_overflow 0
		.amdhsa_exception_fp_ieee_underflow 0
		.amdhsa_exception_fp_ieee_inexact 0
		.amdhsa_exception_int_div_zero 0
	.end_amdhsa_kernel
	.section	.text._ZN9rocsolver6v33100L16mfma_gemm_kernelI19rocblas_complex_numIdElPKS3_PKPS3_S6_S6_EEv18rocblas_operation_S9_T0_SA_SA_T1_T2_lSA_SA_lT3_lSA_SA_lSB_T4_lSA_SA_l,"axG",@progbits,_ZN9rocsolver6v33100L16mfma_gemm_kernelI19rocblas_complex_numIdElPKS3_PKPS3_S6_S6_EEv18rocblas_operation_S9_T0_SA_SA_T1_T2_lSA_SA_lT3_lSA_SA_lSB_T4_lSA_SA_l,comdat
.Lfunc_end54:
	.size	_ZN9rocsolver6v33100L16mfma_gemm_kernelI19rocblas_complex_numIdElPKS3_PKPS3_S6_S6_EEv18rocblas_operation_S9_T0_SA_SA_T1_T2_lSA_SA_lT3_lSA_SA_lSB_T4_lSA_SA_l, .Lfunc_end54-_ZN9rocsolver6v33100L16mfma_gemm_kernelI19rocblas_complex_numIdElPKS3_PKPS3_S6_S6_EEv18rocblas_operation_S9_T0_SA_SA_T1_T2_lSA_SA_lT3_lSA_SA_lSB_T4_lSA_SA_l
                                        ; -- End function
	.section	.AMDGPU.csdata,"",@progbits
; Kernel info:
; codeLenInByte = 3016
; NumSgprs: 63
; NumVgprs: 70
; NumAgprs: 0
; TotalNumVgprs: 70
; ScratchSize: 0
; MemoryBound: 1
; FloatMode: 240
; IeeeMode: 1
; LDSByteSize: 0 bytes/workgroup (compile time only)
; SGPRBlocks: 7
; VGPRBlocks: 8
; NumSGPRsForWavesPerEU: 63
; NumVGPRsForWavesPerEU: 70
; AccumOffset: 72
; Occupancy: 7
; WaveLimiterHint : 0
; COMPUTE_PGM_RSRC2:SCRATCH_EN: 0
; COMPUTE_PGM_RSRC2:USER_SGPR: 6
; COMPUTE_PGM_RSRC2:TRAP_HANDLER: 0
; COMPUTE_PGM_RSRC2:TGID_X_EN: 1
; COMPUTE_PGM_RSRC2:TGID_Y_EN: 1
; COMPUTE_PGM_RSRC2:TGID_Z_EN: 1
; COMPUTE_PGM_RSRC2:TIDIG_COMP_CNT: 1
; COMPUTE_PGM_RSRC3_GFX90A:ACCUM_OFFSET: 17
; COMPUTE_PGM_RSRC3_GFX90A:TG_SPLIT: 0
	.section	.text._ZN9rocsolver6v33100L16mfma_gemm_kernelI19rocblas_complex_numIdElS3_PKPS3_S4_S4_EEv18rocblas_operation_S7_T0_S8_S8_T1_T2_lS8_S8_lT3_lS8_S8_lS9_T4_lS8_S8_l,"axG",@progbits,_ZN9rocsolver6v33100L16mfma_gemm_kernelI19rocblas_complex_numIdElS3_PKPS3_S4_S4_EEv18rocblas_operation_S7_T0_S8_S8_T1_T2_lS8_S8_lT3_lS8_S8_lS9_T4_lS8_S8_l,comdat
	.globl	_ZN9rocsolver6v33100L16mfma_gemm_kernelI19rocblas_complex_numIdElS3_PKPS3_S4_S4_EEv18rocblas_operation_S7_T0_S8_S8_T1_T2_lS8_S8_lT3_lS8_S8_lS9_T4_lS8_S8_l ; -- Begin function _ZN9rocsolver6v33100L16mfma_gemm_kernelI19rocblas_complex_numIdElS3_PKPS3_S4_S4_EEv18rocblas_operation_S7_T0_S8_S8_T1_T2_lS8_S8_lT3_lS8_S8_lS9_T4_lS8_S8_l
	.p2align	8
	.type	_ZN9rocsolver6v33100L16mfma_gemm_kernelI19rocblas_complex_numIdElS3_PKPS3_S4_S4_EEv18rocblas_operation_S7_T0_S8_S8_T1_T2_lS8_S8_lT3_lS8_S8_lS9_T4_lS8_S8_l,@function
_ZN9rocsolver6v33100L16mfma_gemm_kernelI19rocblas_complex_numIdElS3_PKPS3_S4_S4_EEv18rocblas_operation_S7_T0_S8_S8_T1_T2_lS8_S8_lT3_lS8_S8_lS9_T4_lS8_S8_l: ; @_ZN9rocsolver6v33100L16mfma_gemm_kernelI19rocblas_complex_numIdElS3_PKPS3_S4_S4_EEv18rocblas_operation_S7_T0_S8_S8_T1_T2_lS8_S8_lT3_lS8_S8_lS9_T4_lS8_S8_l
; %bb.0:
	s_load_dword s0, s[4:5], 0xc4
	s_load_dwordx16 s[16:31], s[4:5], 0x8
	v_and_b32_e32 v4, 0x3ff, v0
	v_mov_b32_e32 v9, 0
	v_lshrrev_b32_e32 v8, 6, v4
	s_waitcnt lgkmcnt(0)
	s_lshr_b32 s2, s0, 16
	s_bfe_u32 s0, s0, 0xa0006
	v_bfe_u32 v0, v0, 10, 10
	v_mov_b32_e32 v1, v9
	v_mov_b32_e32 v2, s6
	;; [unrolled: 1-line block ×3, first 2 shown]
	v_mad_u64_u32 v[2:3], s[0:1], s0, v2, v[8:9]
	v_mad_u64_u32 v[0:1], s[0:1], s2, v5, v[0:1]
	v_lshlrev_b64 v[12:13], 4, v[2:3]
	v_lshlrev_b64 v[16:17], 4, v[0:1]
	v_cmp_gt_i64_e32 vcc, s[16:17], v[12:13]
	v_cmp_gt_i64_e64 s[0:1], s[18:19], v[16:17]
	s_and_b64 s[0:1], vcc, s[0:1]
	s_and_saveexec_b64 s[2:3], s[0:1]
	s_cbranch_execz .LBB55_36
; %bb.1:
	v_add_co_u32_e32 v6, vcc, 16, v12
	v_addc_co_u32_e32 v7, vcc, 0, v13, vcc
	s_and_b32 s0, s16, 15
	v_mov_b32_e32 v5, s0
	v_cmp_lt_u64_e32 vcc, s[16:17], v[6:7]
	s_load_dwordx16 s[36:51], s[4:5], 0x58
	v_cndmask_b32_e32 v8, 16, v5, vcc
	v_add_co_u32_e32 v6, vcc, 16, v16
	v_addc_co_u32_e32 v7, vcc, 0, v17, vcc
	s_and_b32 s0, s18, 15
	v_mov_b32_e32 v5, s0
	v_cmp_lt_u64_e32 vcc, s[18:19], v[6:7]
	v_cndmask_b32_e32 v14, 16, v5, vcc
	v_mov_b32_e32 v15, v9
	v_bfe_u32 v18, v4, 2, 4
	v_mov_b32_e32 v19, v9
	v_cmp_lt_i64_e64 s[0:1], s[20:21], 1
	v_pk_mov_b32 v[34:35], 0, 0
	s_mov_b32 s9, 0
	v_and_b32_e32 v46, 63, v4
	v_and_b32_e32 v10, 3, v4
	v_mov_b32_e32 v11, v9
	s_mov_b64 s[18:19], 0
	s_and_b64 vcc, exec, s[0:1]
	v_cmp_lt_u64_e64 s[0:1], v[18:19], v[14:15]
	v_mbcnt_lo_u32_b32 v29, -1, 0
	v_pk_mov_b32 v[38:39], v[34:35], v[34:35] op_sel:[0,1]
	v_pk_mov_b32 v[20:21], v[34:35], v[34:35] op_sel:[0,1]
	;; [unrolled: 1-line block ×7, first 2 shown]
	s_cbranch_vccnz .LBB55_28
; %bb.2:
	s_load_dwordx2 s[14:15], s[4:5], 0x0
	s_load_dwordx2 s[16:17], s[4:5], 0x48
	v_mov_b32_e32 v5, 0
	v_and_b32_e32 v4, 15, v46
	v_lshrrev_b32_e32 v28, 4, v46
	s_waitcnt lgkmcnt(0)
	s_cmpk_lg_i32 s14, 0x6f
	s_cselect_b64 s[34:35], -1, 0
	s_cmpk_lg_i32 s15, 0x6f
	s_cselect_b64 s[52:53], -1, 0
	s_cmpk_eq_i32 s15, 0x6f
	s_cselect_b32 s33, s42, s40
	s_cselect_b32 s56, s43, s41
	s_lshl_b64 s[2:3], s[8:9], 3
	s_add_u32 s2, s26, s2
	s_addc_u32 s3, s27, s3
	s_cmpk_eq_i32 s14, 0x6f
	s_cselect_b32 s9, s30, s16
	s_cselect_b32 s54, s31, s17
	v_cmp_lt_u64_e64 s[6:7], v[4:5], v[8:9]
	v_cmp_lt_u64_e64 s[10:11], v[4:5], v[14:15]
	v_mul_lo_u32 v5, s54, v2
	v_mul_lo_u32 v6, s9, v3
	v_mad_u64_u32 v[2:3], s[54:55], s9, v2, 0
	v_add3_u32 v3, v3, v6, v5
	v_mad_u64_u32 v[6:7], s[54:55], s16, v28, 0
	v_mov_b32_e32 v20, v7
	v_mad_u64_u32 v[20:21], s[54:55], s17, v28, v[20:21]
	v_mov_b32_e32 v7, v20
	v_lshlrev_b64 v[2:3], 8, v[2:3]
	v_lshlrev_b64 v[6:7], 4, v[6:7]
	v_add_co_u32_e32 v5, vcc, v2, v6
	s_load_dwordx2 s[26:27], s[2:3], 0x0
	v_addc_co_u32_e32 v23, vcc, v3, v7, vcc
	v_mad_u64_u32 v[6:7], s[54:55], s30, v4, 0
	v_mov_b32_e32 v20, v7
	s_cmpk_eq_i32 s14, 0x71
	v_mad_u64_u32 v[20:21], s[54:55], s31, v4, v[20:21]
	s_cselect_b64 s[12:13], -1, 0
	s_cmpk_eq_i32 s15, 0x71
	v_mov_b32_e32 v7, v20
	s_cselect_b64 s[14:15], -1, 0
	v_lshlrev_b64 v[6:7], 4, v[6:7]
	s_lshl_b64 s[28:29], s[28:29], 4
	v_add_co_u32_e32 v5, vcc, v5, v6
	s_waitcnt lgkmcnt(0)
	s_add_u32 s9, s26, s28
	v_addc_co_u32_e32 v6, vcc, v23, v7, vcc
	s_addc_u32 s54, s27, s29
	v_mov_b32_e32 v7, s54
	v_add_co_u32_e32 v5, vcc, s9, v5
	v_addc_co_u32_e32 v6, vcc, v7, v6, vcc
	v_add_co_u32_e32 v36, vcc, 8, v5
	v_addc_co_u32_e32 v37, vcc, 0, v6, vcc
	v_mul_lo_u32 v5, s56, v0
	v_mul_lo_u32 v6, s33, v1
	v_mad_u64_u32 v[0:1], s[28:29], s33, v0, 0
	v_add3_u32 v1, v1, v6, v5
	v_mad_u64_u32 v[6:7], s[28:29], s42, v28, 0
	v_mov_b32_e32 v20, v7
	v_mad_u64_u32 v[20:21], s[28:29], s43, v28, v[20:21]
	v_mov_b32_e32 v7, v20
	v_lshlrev_b64 v[0:1], 8, v[0:1]
	v_lshlrev_b64 v[6:7], 4, v[6:7]
	s_mul_i32 s28, s45, s8
	s_mul_hi_u32 s29, s44, s8
	v_add_co_u32_e32 v5, vcc, v0, v6
	s_add_i32 s29, s29, s28
	s_mul_i32 s28, s44, s8
	v_addc_co_u32_e32 v6, vcc, v1, v7, vcc
	s_lshl_b64 s[44:45], s[28:29], 4
	v_mov_b32_e32 v21, s45
	v_add_co_u32_e32 v23, vcc, s44, v5
	v_addc_co_u32_e32 v24, vcc, v6, v21, vcc
	v_mad_u64_u32 v[6:7], s[28:29], s40, v4, 0
	v_mov_b32_e32 v20, v7
	v_lshl_or_b32 v22, v4, 2, v28
	v_mad_u64_u32 v[4:5], s[28:29], s41, v4, v[20:21]
	v_mov_b32_e32 v7, v4
	s_lshl_b64 s[26:27], s[16:17], 6
	v_lshlrev_b64 v[4:5], 4, v[6:7]
	s_lshl_b64 s[28:29], s[38:39], 4
	v_add_co_u32_e32 v4, vcc, v23, v4
	s_add_u32 s33, s36, s28
	v_addc_co_u32_e32 v5, vcc, v24, v5, vcc
	s_addc_u32 s38, s37, s29
	v_mov_b32_e32 v6, s38
	v_add_co_u32_e32 v4, vcc, s33, v4
	v_addc_co_u32_e32 v5, vcc, v6, v5, vcc
	v_add_co_u32_e32 v40, vcc, 8, v4
	v_addc_co_u32_e32 v41, vcc, 0, v5, vcc
	v_mad_u64_u32 v[4:5], s[36:37], s16, v18, 0
	v_mov_b32_e32 v6, v5
	v_mad_u64_u32 v[6:7], s[16:17], s17, v18, v[6:7]
	v_mov_b32_e32 v5, v6
	v_lshlrev_b64 v[4:5], 4, v[4:5]
	v_add_co_u32_e32 v6, vcc, v2, v4
	v_addc_co_u32_e32 v7, vcc, v3, v5, vcc
	v_mad_u64_u32 v[2:3], s[16:17], s30, v10, 0
	v_mov_b32_e32 v4, v3
	v_mad_u64_u32 v[4:5], s[16:17], s31, v10, v[4:5]
	v_mov_b32_e32 v3, v4
	v_lshlrev_b64 v[2:3], 4, v[2:3]
	v_add_co_u32_e32 v2, vcc, v6, v2
	v_addc_co_u32_e32 v3, vcc, v7, v3, vcc
	v_mov_b32_e32 v4, s54
	v_add_co_u32_e32 v2, vcc, s9, v2
	v_addc_co_u32_e32 v3, vcc, v4, v3, vcc
	v_add_co_u32_e32 v42, vcc, 8, v2
	v_addc_co_u32_e32 v43, vcc, 0, v3, vcc
	v_mad_u64_u32 v[2:3], s[16:17], s42, v18, 0
	v_mov_b32_e32 v4, v3
	v_mad_u64_u32 v[4:5], s[16:17], s43, v18, v[4:5]
	v_mov_b32_e32 v3, v4
	v_lshlrev_b64 v[2:3], 4, v[2:3]
	v_add_co_u32_e32 v0, vcc, v0, v2
	v_addc_co_u32_e32 v1, vcc, v1, v3, vcc
	v_add_co_u32_e32 v4, vcc, s44, v0
	v_addc_co_u32_e32 v5, vcc, v1, v21, vcc
	v_mad_u64_u32 v[0:1], s[16:17], s40, v10, 0
	v_mov_b32_e32 v2, v1
	v_mad_u64_u32 v[2:3], s[16:17], s41, v10, v[2:3]
	v_mov_b32_e32 v1, v2
	v_lshlrev_b64 v[0:1], 4, v[0:1]
	v_add_co_u32_e32 v0, vcc, v4, v0
	v_addc_co_u32_e32 v1, vcc, v5, v1, vcc
	v_mov_b32_e32 v2, s38
	v_add_co_u32_e32 v0, vcc, s33, v0
	v_addc_co_u32_e32 v1, vcc, v2, v1, vcc
	v_add_co_u32_e32 v44, vcc, 8, v0
	v_mbcnt_hi_u32_b32 v0, -1, v29
	v_pk_mov_b32 v[20:21], 0, 0
	v_and_or_b32 v0, v0, 64, v22
	v_cmp_lt_u64_e64 s[2:3], v[18:19], v[8:9]
	s_lshl_b64 s[28:29], s[42:43], 6
	s_lshl_b64 s[30:31], s[30:31], 6
	v_addc_co_u32_e32 v45, vcc, 0, v1, vcc
	s_lshl_b64 s[36:37], s[40:41], 6
	v_lshlrev_b32_e32 v47, 2, v0
	v_pk_mov_b32 v[24:25], v[20:21], v[20:21] op_sel:[0,1]
	v_pk_mov_b32 v[30:31], v[20:21], v[20:21] op_sel:[0,1]
	;; [unrolled: 1-line block ×7, first 2 shown]
	s_branch .LBB55_6
.LBB55_3:                               ;   in Loop: Header=BB55_6 Depth=1
	s_or_b64 exec, exec, s[38:39]
.LBB55_4:                               ;   in Loop: Header=BB55_6 Depth=1
	s_or_b64 exec, exec, s[16:17]
	s_waitcnt vmcnt(0)
	ds_bpermute_b32 v4, v47, v4
	ds_bpermute_b32 v5, v47, v5
	;; [unrolled: 1-line block ×4, first 2 shown]
.LBB55_5:                               ;   in Loop: Header=BB55_6 Depth=1
	s_waitcnt vmcnt(0) lgkmcnt(0)
	v_xor_b32_e32 v48, 0x80000000, v3
	v_cndmask_b32_e64 v3, v3, v48, s[12:13]
	v_cndmask_b32_e64 v2, v2, v2, s[12:13]
	v_xor_b32_e32 v48, 0x80000000, v7
	v_cndmask_b32_e64 v7, v7, v48, s[14:15]
	v_cndmask_b32_e64 v6, v6, v6, s[14:15]
	v_mfma_f64_16x16x4f64 v[48:55], v[0:1], v[4:5], 0
	s_add_u32 s18, s18, 4
	s_addc_u32 s19, s19, 0
	v_add_co_u32_e64 v36, s[16:17], s26, v36
	v_mfma_f64_16x16x4f64 v[56:63], v[2:3], v[6:7], 0
	s_nop 7
	s_nop 2
	v_add_f64 v[54:55], v[54:55], -v[62:63]
	v_pk_mov_b32 v[62:63], s[20:21], s[20:21] op_sel:[0,1]
	v_cmp_ge_i64_e32 vcc, s[18:19], v[62:63]
	v_mfma_f64_16x16x4f64 v[62:69], v[0:1], v[6:7], 0
	s_and_b64 vcc, exec, vcc
	v_add_f64 v[52:53], v[52:53], -v[60:61]
	v_add_f64 v[50:51], v[50:51], -v[58:59]
	;; [unrolled: 1-line block ×3, first 2 shown]
	v_add_f64 v[34:35], v[34:35], v[48:49]
	v_add_f64 v[32:33], v[32:33], v[50:51]
	;; [unrolled: 1-line block ×4, first 2 shown]
	v_mfma_f64_16x16x4f64 v[0:7], v[2:3], v[4:5], 0
	s_nop 7
	s_nop 2
	v_add_f64 v[0:1], v[62:63], v[0:1]
	v_add_f64 v[38:39], v[38:39], v[0:1]
	v_mov_b32_e32 v0, s27
	v_addc_co_u32_e64 v37, s[16:17], v37, v0, s[16:17]
	v_mov_b32_e32 v0, s29
	v_add_co_u32_e64 v40, s[16:17], s28, v40
	v_addc_co_u32_e64 v41, s[16:17], v41, v0, s[16:17]
	v_mov_b32_e32 v0, s31
	v_add_co_u32_e64 v42, s[16:17], s30, v42
	v_addc_co_u32_e64 v43, s[16:17], v43, v0, s[16:17]
	v_add_f64 v[6:7], v[68:69], v[6:7]
	v_add_f64 v[4:5], v[66:67], v[4:5]
	;; [unrolled: 1-line block ×3, first 2 shown]
	v_mov_b32_e32 v0, s37
	v_add_co_u32_e64 v44, s[16:17], s36, v44
	v_add_f64 v[30:31], v[30:31], v[2:3]
	v_add_f64 v[24:25], v[24:25], v[4:5]
	;; [unrolled: 1-line block ×3, first 2 shown]
	v_addc_co_u32_e64 v45, s[16:17], v45, v0, s[16:17]
	s_cbranch_vccnz .LBB55_28
.LBB55_6:                               ; =>This Inner Loop Header: Depth=1
	s_and_b64 vcc, exec, s[34:35]
	s_cbranch_vccz .LBB55_18
; %bb.7:                                ;   in Loop: Header=BB55_6 Depth=1
	v_pk_mov_b32 v[0:1], 0, 0
	s_mov_b64 s[16:17], 0
	v_pk_mov_b32 v[2:3], v[0:1], v[0:1] op_sel:[0,1]
	s_and_saveexec_b64 s[38:39], s[2:3]
	s_cbranch_execz .LBB55_11
; %bb.8:                                ;   in Loop: Header=BB55_6 Depth=1
	v_mov_b32_e32 v1, s19
	v_add_co_u32_e32 v0, vcc, s18, v10
	v_addc_co_u32_e32 v1, vcc, 0, v1, vcc
	v_pk_mov_b32 v[2:3], 0, 0
	v_cmp_gt_i64_e32 vcc, s[20:21], v[0:1]
	v_pk_mov_b32 v[0:1], v[2:3], v[2:3] op_sel:[0,1]
	s_and_saveexec_b64 s[40:41], vcc
	s_cbranch_execz .LBB55_10
; %bb.9:                                ;   in Loop: Header=BB55_6 Depth=1
	global_load_dwordx4 v[0:3], v[42:43], off offset:-8
.LBB55_10:                              ;   in Loop: Header=BB55_6 Depth=1
	s_or_b64 exec, exec, s[40:41]
.LBB55_11:                              ;   in Loop: Header=BB55_6 Depth=1
	s_or_b64 exec, exec, s[38:39]
	s_waitcnt vmcnt(0)
	ds_bpermute_b32 v0, v47, v0
	ds_bpermute_b32 v1, v47, v1
	;; [unrolled: 1-line block ×4, first 2 shown]
	s_and_b64 vcc, exec, s[16:17]
	s_cbranch_vccnz .LBB55_19
.LBB55_12:                              ;   in Loop: Header=BB55_6 Depth=1
	s_and_b64 vcc, exec, s[52:53]
	s_cbranch_vccz .LBB55_24
.LBB55_13:                              ;   in Loop: Header=BB55_6 Depth=1
	v_pk_mov_b32 v[6:7], 0, 0
	s_mov_b64 s[16:17], 0
	v_pk_mov_b32 v[4:5], v[6:7], v[6:7] op_sel:[0,1]
	s_and_saveexec_b64 s[38:39], s[10:11]
	s_cbranch_execz .LBB55_17
; %bb.14:                               ;   in Loop: Header=BB55_6 Depth=1
	v_mov_b32_e32 v5, s19
	v_add_co_u32_e32 v4, vcc, s18, v28
	v_addc_co_u32_e32 v5, vcc, 0, v5, vcc
	v_pk_mov_b32 v[6:7], 0, 0
	v_cmp_gt_i64_e32 vcc, s[20:21], v[4:5]
	v_pk_mov_b32 v[4:5], v[6:7], v[6:7] op_sel:[0,1]
	s_and_saveexec_b64 s[40:41], vcc
	s_cbranch_execz .LBB55_16
; %bb.15:                               ;   in Loop: Header=BB55_6 Depth=1
	global_load_dwordx4 v[4:7], v[40:41], off offset:-8
.LBB55_16:                              ;   in Loop: Header=BB55_6 Depth=1
	s_or_b64 exec, exec, s[40:41]
.LBB55_17:                              ;   in Loop: Header=BB55_6 Depth=1
	s_or_b64 exec, exec, s[38:39]
	s_andn2_b64 vcc, exec, s[16:17]
	s_cbranch_vccnz .LBB55_5
	s_branch .LBB55_25
.LBB55_18:                              ;   in Loop: Header=BB55_6 Depth=1
                                        ; implicit-def: $vgpr2_vgpr3
	s_cbranch_execz .LBB55_12
.LBB55_19:                              ;   in Loop: Header=BB55_6 Depth=1
	s_waitcnt lgkmcnt(0)
	v_pk_mov_b32 v[2:3], 0, 0
	v_pk_mov_b32 v[0:1], v[2:3], v[2:3] op_sel:[0,1]
	s_and_saveexec_b64 s[16:17], s[6:7]
	s_cbranch_execz .LBB55_23
; %bb.20:                               ;   in Loop: Header=BB55_6 Depth=1
	v_mov_b32_e32 v1, s19
	v_add_co_u32_e32 v0, vcc, s18, v28
	v_addc_co_u32_e32 v1, vcc, 0, v1, vcc
	v_pk_mov_b32 v[2:3], 0, 0
	v_cmp_gt_i64_e32 vcc, s[20:21], v[0:1]
	v_pk_mov_b32 v[0:1], v[2:3], v[2:3] op_sel:[0,1]
	s_and_saveexec_b64 s[38:39], vcc
	s_cbranch_execz .LBB55_22
; %bb.21:                               ;   in Loop: Header=BB55_6 Depth=1
	global_load_dwordx4 v[0:3], v[36:37], off offset:-8
.LBB55_22:                              ;   in Loop: Header=BB55_6 Depth=1
	s_or_b64 exec, exec, s[38:39]
.LBB55_23:                              ;   in Loop: Header=BB55_6 Depth=1
	s_or_b64 exec, exec, s[16:17]
	s_and_b64 vcc, exec, s[52:53]
	s_cbranch_vccnz .LBB55_13
.LBB55_24:                              ;   in Loop: Header=BB55_6 Depth=1
                                        ; implicit-def: $vgpr6_vgpr7
.LBB55_25:                              ;   in Loop: Header=BB55_6 Depth=1
	s_waitcnt vmcnt(0)
	v_pk_mov_b32 v[4:5], 0, 0
	v_pk_mov_b32 v[6:7], v[4:5], v[4:5] op_sel:[0,1]
	s_and_saveexec_b64 s[16:17], s[0:1]
	s_cbranch_execz .LBB55_4
; %bb.26:                               ;   in Loop: Header=BB55_6 Depth=1
	v_mov_b32_e32 v5, s19
	v_add_co_u32_e32 v4, vcc, s18, v10
	v_addc_co_u32_e32 v5, vcc, 0, v5, vcc
	v_pk_mov_b32 v[6:7], 0, 0
	v_cmp_gt_i64_e32 vcc, s[20:21], v[4:5]
	v_pk_mov_b32 v[4:5], v[6:7], v[6:7] op_sel:[0,1]
	s_and_saveexec_b64 s[38:39], vcc
	s_cbranch_execz .LBB55_3
; %bb.27:                               ;   in Loop: Header=BB55_6 Depth=1
	global_load_dwordx4 v[4:7], v[44:45], off offset:-8
	s_branch .LBB55_3
.LBB55_28:
	s_load_dwordx8 s[0:7], s[4:5], 0x98
	s_waitcnt lgkmcnt(0)
	s_mul_i32 s7, s8, s7
	s_mul_hi_u32 s9, s8, s6
	s_mul_i32 s6, s8, s6
	s_add_i32 s7, s9, s7
	s_lshl_b64 s[6:7], s[6:7], 4
	s_add_u32 s6, s50, s6
	s_addc_u32 s7, s51, s7
	s_lshl_b64 s[0:1], s[0:1], 4
	s_add_u32 s6, s6, s0
	v_mul_lo_u32 v2, v17, s4
	s_addc_u32 s7, s7, s1
	v_mul_lo_u32 v3, v16, s5
	v_mad_u64_u32 v[0:1], s[0:1], v16, s4, 0
	v_add3_u32 v1, v1, v3, v2
	v_mul_lo_u32 v4, v13, s2
	v_mul_lo_u32 v5, v12, s3
	v_mad_u64_u32 v[2:3], s[0:1], v12, s2, 0
	v_lshlrev_b64 v[0:1], 4, v[0:1]
	v_add3_u32 v3, v3, v5, v4
	v_mov_b32_e32 v4, s7
	v_add_co_u32_e32 v5, vcc, s6, v0
	v_addc_co_u32_e32 v4, vcc, v4, v1, vcc
	v_lshlrev_b64 v[0:1], 4, v[2:3]
	v_add_co_u32_e32 v6, vcc, v5, v0
	v_lshl_or_b32 v0, v46, 4, v18
	v_addc_co_u32_e32 v7, vcc, v4, v1, vcc
	v_mbcnt_hi_u32_b32 v1, -1, v29
	v_and_b32_e32 v0, 63, v0
	v_and_or_b32 v0, v1, 64, v0
	v_lshlrev_b32_e32 v12, 2, v0
	v_mad_u64_u32 v[0:1], s[0:1], v18, s4, 0
	v_mov_b32_e32 v2, v1
	v_mad_u64_u32 v[2:3], s[0:1], v18, s5, v[2:3]
	v_mov_b32_e32 v1, v2
	v_lshlrev_b64 v[4:5], 4, v[0:1]
	ds_bpermute_b32 v0, v12, v34
	ds_bpermute_b32 v1, v12, v35
	;; [unrolled: 1-line block ×4, first 2 shown]
	v_add_co_u32_e64 v6, s[0:1], v6, v4
	v_addc_co_u32_e64 v7, s[0:1], v7, v5, s[0:1]
	v_cmp_lt_u64_e32 vcc, v[18:19], v[14:15]
	v_cmp_lt_u64_e64 s[0:1], v[10:11], v[8:9]
	s_and_b64 s[0:1], vcc, s[0:1]
	s_and_saveexec_b64 s[4:5], s[0:1]
	s_cbranch_execz .LBB55_30
; %bb.29:
	v_mad_u64_u32 v[4:5], s[0:1], v10, s2, 0
	v_mov_b32_e32 v14, v5
	v_mad_u64_u32 v[14:15], s[0:1], v10, s3, v[14:15]
	v_mov_b32_e32 v5, v14
	v_lshlrev_b64 v[4:5], 4, v[4:5]
	v_add_co_u32_e64 v4, s[0:1], v6, v4
	v_addc_co_u32_e64 v5, s[0:1], v7, v5, s[0:1]
	global_load_dwordx4 v[14:17], v[4:5], off
	s_waitcnt lgkmcnt(0)
	v_mul_f64 v[18:19], s[24:25], v[2:3]
	v_mul_f64 v[2:3], s[22:23], v[2:3]
	v_fma_f64 v[18:19], s[22:23], v[0:1], -v[18:19]
	v_fmac_f64_e32 v[2:3], s[24:25], v[0:1]
	s_waitcnt vmcnt(0)
	v_mul_f64 v[0:1], s[48:49], v[16:17]
	v_mul_f64 v[16:17], s[46:47], v[16:17]
	v_fma_f64 v[0:1], s[46:47], v[14:15], -v[0:1]
	v_fmac_f64_e32 v[16:17], s[48:49], v[14:15]
	v_add_f64 v[0:1], v[18:19], v[0:1]
	v_add_f64 v[2:3], v[2:3], v[16:17]
	global_store_dwordx4 v[4:5], v[0:3], off
.LBB55_30:
	s_or_b64 exec, exec, s[4:5]
	s_waitcnt lgkmcnt(3)
	ds_bpermute_b32 v0, v12, v32
	s_waitcnt lgkmcnt(3)
	ds_bpermute_b32 v1, v12, v33
	;; [unrolled: 2-line block ×4, first 2 shown]
	v_or_b32_e32 v4, 4, v10
	v_mov_b32_e32 v5, v11
	v_cmp_lt_u64_e64 s[0:1], v[4:5], v[8:9]
	s_and_b64 s[0:1], vcc, s[0:1]
	s_and_saveexec_b64 s[4:5], s[0:1]
	s_cbranch_execz .LBB55_32
; %bb.31:
	v_mad_u64_u32 v[14:15], s[0:1], v4, s2, 0
	v_mov_b32_e32 v16, v15
	v_mad_u64_u32 v[4:5], s[0:1], v4, s3, v[16:17]
	v_mov_b32_e32 v15, v4
	v_lshlrev_b64 v[4:5], 4, v[14:15]
	v_add_co_u32_e64 v4, s[0:1], v6, v4
	v_addc_co_u32_e64 v5, s[0:1], v7, v5, s[0:1]
	global_load_dwordx4 v[14:17], v[4:5], off
	s_waitcnt lgkmcnt(0)
	v_mul_f64 v[18:19], s[24:25], v[2:3]
	v_mul_f64 v[2:3], s[22:23], v[2:3]
	v_fma_f64 v[18:19], s[22:23], v[0:1], -v[18:19]
	v_fmac_f64_e32 v[2:3], s[24:25], v[0:1]
	s_waitcnt vmcnt(0)
	v_mul_f64 v[0:1], s[48:49], v[16:17]
	v_mul_f64 v[16:17], s[46:47], v[16:17]
	v_fma_f64 v[0:1], s[46:47], v[14:15], -v[0:1]
	v_fmac_f64_e32 v[16:17], s[48:49], v[14:15]
	v_add_f64 v[0:1], v[18:19], v[0:1]
	v_add_f64 v[2:3], v[2:3], v[16:17]
	global_store_dwordx4 v[4:5], v[0:3], off
.LBB55_32:
	s_or_b64 exec, exec, s[4:5]
	s_waitcnt lgkmcnt(3)
	ds_bpermute_b32 v0, v12, v26
	s_waitcnt lgkmcnt(3)
	ds_bpermute_b32 v1, v12, v27
	;; [unrolled: 2-line block ×4, first 2 shown]
	v_or_b32_e32 v4, 8, v10
	v_mov_b32_e32 v5, v11
	v_cmp_lt_u64_e64 s[0:1], v[4:5], v[8:9]
	s_and_b64 s[0:1], vcc, s[0:1]
	s_and_saveexec_b64 s[4:5], s[0:1]
	s_cbranch_execz .LBB55_34
; %bb.33:
	v_mad_u64_u32 v[14:15], s[0:1], v4, s2, 0
	v_mov_b32_e32 v16, v15
	v_mad_u64_u32 v[4:5], s[0:1], v4, s3, v[16:17]
	v_mov_b32_e32 v15, v4
	v_lshlrev_b64 v[4:5], 4, v[14:15]
	v_add_co_u32_e64 v4, s[0:1], v6, v4
	v_addc_co_u32_e64 v5, s[0:1], v7, v5, s[0:1]
	global_load_dwordx4 v[14:17], v[4:5], off
	s_waitcnt lgkmcnt(0)
	v_mul_f64 v[18:19], s[24:25], v[2:3]
	v_mul_f64 v[2:3], s[22:23], v[2:3]
	v_fma_f64 v[18:19], s[22:23], v[0:1], -v[18:19]
	v_fmac_f64_e32 v[2:3], s[24:25], v[0:1]
	s_waitcnt vmcnt(0)
	v_mul_f64 v[0:1], s[48:49], v[16:17]
	v_mul_f64 v[16:17], s[46:47], v[16:17]
	v_fma_f64 v[0:1], s[46:47], v[14:15], -v[0:1]
	v_fmac_f64_e32 v[16:17], s[48:49], v[14:15]
	v_add_f64 v[0:1], v[18:19], v[0:1]
	v_add_f64 v[2:3], v[2:3], v[16:17]
	global_store_dwordx4 v[4:5], v[0:3], off
.LBB55_34:
	s_or_b64 exec, exec, s[4:5]
	s_waitcnt lgkmcnt(3)
	ds_bpermute_b32 v0, v12, v22
	s_waitcnt lgkmcnt(3)
	ds_bpermute_b32 v1, v12, v23
	;; [unrolled: 2-line block ×4, first 2 shown]
	v_or_b32_e32 v10, 12, v10
	v_cmp_lt_u64_e64 s[0:1], v[10:11], v[8:9]
	s_and_b64 s[0:1], vcc, s[0:1]
	s_and_b64 exec, exec, s[0:1]
	s_cbranch_execz .LBB55_36
; %bb.35:
	v_mad_u64_u32 v[4:5], s[0:1], v10, s2, 0
	v_mov_b32_e32 v8, v5
	v_mad_u64_u32 v[8:9], s[0:1], v10, s3, v[8:9]
	v_mov_b32_e32 v5, v8
	v_lshlrev_b64 v[4:5], 4, v[4:5]
	v_add_co_u32_e32 v8, vcc, v6, v4
	v_addc_co_u32_e32 v9, vcc, v7, v5, vcc
	global_load_dwordx4 v[4:7], v[8:9], off
	s_waitcnt lgkmcnt(0)
	v_mul_f64 v[10:11], s[24:25], v[2:3]
	v_mul_f64 v[2:3], s[22:23], v[2:3]
	v_fma_f64 v[10:11], s[22:23], v[0:1], -v[10:11]
	v_fmac_f64_e32 v[2:3], s[24:25], v[0:1]
	s_waitcnt vmcnt(0)
	v_mul_f64 v[0:1], s[48:49], v[6:7]
	v_mul_f64 v[6:7], s[46:47], v[6:7]
	v_fma_f64 v[0:1], s[46:47], v[4:5], -v[0:1]
	v_fmac_f64_e32 v[6:7], s[48:49], v[4:5]
	v_add_f64 v[0:1], v[10:11], v[0:1]
	v_add_f64 v[2:3], v[2:3], v[6:7]
	global_store_dwordx4 v[8:9], v[0:3], off
.LBB55_36:
	s_endpgm
	.section	.rodata,"a",@progbits
	.p2align	6, 0x0
	.amdhsa_kernel _ZN9rocsolver6v33100L16mfma_gemm_kernelI19rocblas_complex_numIdElS3_PKPS3_S4_S4_EEv18rocblas_operation_S7_T0_S8_S8_T1_T2_lS8_S8_lT3_lS8_S8_lS9_T4_lS8_S8_l
		.amdhsa_group_segment_fixed_size 0
		.amdhsa_private_segment_fixed_size 0
		.amdhsa_kernarg_size 440
		.amdhsa_user_sgpr_count 6
		.amdhsa_user_sgpr_private_segment_buffer 1
		.amdhsa_user_sgpr_dispatch_ptr 0
		.amdhsa_user_sgpr_queue_ptr 0
		.amdhsa_user_sgpr_kernarg_segment_ptr 1
		.amdhsa_user_sgpr_dispatch_id 0
		.amdhsa_user_sgpr_flat_scratch_init 0
		.amdhsa_user_sgpr_kernarg_preload_length 0
		.amdhsa_user_sgpr_kernarg_preload_offset 0
		.amdhsa_user_sgpr_private_segment_size 0
		.amdhsa_uses_dynamic_stack 0
		.amdhsa_system_sgpr_private_segment_wavefront_offset 0
		.amdhsa_system_sgpr_workgroup_id_x 1
		.amdhsa_system_sgpr_workgroup_id_y 1
		.amdhsa_system_sgpr_workgroup_id_z 1
		.amdhsa_system_sgpr_workgroup_info 0
		.amdhsa_system_vgpr_workitem_id 1
		.amdhsa_next_free_vgpr 70
		.amdhsa_next_free_sgpr 57
		.amdhsa_accum_offset 72
		.amdhsa_reserve_vcc 1
		.amdhsa_reserve_flat_scratch 0
		.amdhsa_float_round_mode_32 0
		.amdhsa_float_round_mode_16_64 0
		.amdhsa_float_denorm_mode_32 3
		.amdhsa_float_denorm_mode_16_64 3
		.amdhsa_dx10_clamp 1
		.amdhsa_ieee_mode 1
		.amdhsa_fp16_overflow 0
		.amdhsa_tg_split 0
		.amdhsa_exception_fp_ieee_invalid_op 0
		.amdhsa_exception_fp_denorm_src 0
		.amdhsa_exception_fp_ieee_div_zero 0
		.amdhsa_exception_fp_ieee_overflow 0
		.amdhsa_exception_fp_ieee_underflow 0
		.amdhsa_exception_fp_ieee_inexact 0
		.amdhsa_exception_int_div_zero 0
	.end_amdhsa_kernel
	.section	.text._ZN9rocsolver6v33100L16mfma_gemm_kernelI19rocblas_complex_numIdElS3_PKPS3_S4_S4_EEv18rocblas_operation_S7_T0_S8_S8_T1_T2_lS8_S8_lT3_lS8_S8_lS9_T4_lS8_S8_l,"axG",@progbits,_ZN9rocsolver6v33100L16mfma_gemm_kernelI19rocblas_complex_numIdElS3_PKPS3_S4_S4_EEv18rocblas_operation_S7_T0_S8_S8_T1_T2_lS8_S8_lT3_lS8_S8_lS9_T4_lS8_S8_l,comdat
.Lfunc_end55:
	.size	_ZN9rocsolver6v33100L16mfma_gemm_kernelI19rocblas_complex_numIdElS3_PKPS3_S4_S4_EEv18rocblas_operation_S7_T0_S8_S8_T1_T2_lS8_S8_lT3_lS8_S8_lS9_T4_lS8_S8_l, .Lfunc_end55-_ZN9rocsolver6v33100L16mfma_gemm_kernelI19rocblas_complex_numIdElS3_PKPS3_S4_S4_EEv18rocblas_operation_S7_T0_S8_S8_T1_T2_lS8_S8_lT3_lS8_S8_lS9_T4_lS8_S8_l
                                        ; -- End function
	.section	.AMDGPU.csdata,"",@progbits
; Kernel info:
; codeLenInByte = 2996
; NumSgprs: 61
; NumVgprs: 70
; NumAgprs: 0
; TotalNumVgprs: 70
; ScratchSize: 0
; MemoryBound: 1
; FloatMode: 240
; IeeeMode: 1
; LDSByteSize: 0 bytes/workgroup (compile time only)
; SGPRBlocks: 7
; VGPRBlocks: 8
; NumSGPRsForWavesPerEU: 61
; NumVGPRsForWavesPerEU: 70
; AccumOffset: 72
; Occupancy: 7
; WaveLimiterHint : 1
; COMPUTE_PGM_RSRC2:SCRATCH_EN: 0
; COMPUTE_PGM_RSRC2:USER_SGPR: 6
; COMPUTE_PGM_RSRC2:TRAP_HANDLER: 0
; COMPUTE_PGM_RSRC2:TGID_X_EN: 1
; COMPUTE_PGM_RSRC2:TGID_Y_EN: 1
; COMPUTE_PGM_RSRC2:TGID_Z_EN: 1
; COMPUTE_PGM_RSRC2:TIDIG_COMP_CNT: 1
; COMPUTE_PGM_RSRC3_GFX90A:ACCUM_OFFSET: 17
; COMPUTE_PGM_RSRC3_GFX90A:TG_SPLIT: 0
	.section	.text._ZN9rocsolver6v33100L11gemm_kernelI19rocblas_complex_numIdElPKS3_PKPS3_S6_S6_EEvT0_S9_S9_T1_bT2_lS9_S9_lbT3_lS9_S9_lSA_T4_lS9_S9_l,"axG",@progbits,_ZN9rocsolver6v33100L11gemm_kernelI19rocblas_complex_numIdElPKS3_PKPS3_S6_S6_EEvT0_S9_S9_T1_bT2_lS9_S9_lbT3_lS9_S9_lSA_T4_lS9_S9_l,comdat
	.globl	_ZN9rocsolver6v33100L11gemm_kernelI19rocblas_complex_numIdElPKS3_PKPS3_S6_S6_EEvT0_S9_S9_T1_bT2_lS9_S9_lbT3_lS9_S9_lSA_T4_lS9_S9_l ; -- Begin function _ZN9rocsolver6v33100L11gemm_kernelI19rocblas_complex_numIdElPKS3_PKPS3_S6_S6_EEvT0_S9_S9_T1_bT2_lS9_S9_lbT3_lS9_S9_lSA_T4_lS9_S9_l
	.p2align	8
	.type	_ZN9rocsolver6v33100L11gemm_kernelI19rocblas_complex_numIdElPKS3_PKPS3_S6_S6_EEvT0_S9_S9_T1_bT2_lS9_S9_lbT3_lS9_S9_lSA_T4_lS9_S9_l,@function
_ZN9rocsolver6v33100L11gemm_kernelI19rocblas_complex_numIdElPKS3_PKPS3_S6_S6_EEvT0_S9_S9_T1_bT2_lS9_S9_lbT3_lS9_S9_lSA_T4_lS9_S9_l: ; @_ZN9rocsolver6v33100L11gemm_kernelI19rocblas_complex_numIdElPKS3_PKPS3_S6_S6_EEvT0_S9_S9_T1_bT2_lS9_S9_lbT3_lS9_S9_lSA_T4_lS9_S9_l
; %bb.0:
	s_load_dword s0, s[4:5], 0xbc
	s_load_dwordx8 s[24:31], s[4:5], 0x0
	v_and_b32_e32 v4, 0x3ff, v0
	v_mov_b32_e32 v5, 0
	v_mov_b32_e32 v1, s6
	s_waitcnt lgkmcnt(0)
	s_lshr_b32 s2, s0, 16
	s_and_b32 s0, s0, 0xffff
	v_mad_u64_u32 v[2:3], s[0:1], s0, v1, v[4:5]
	v_bfe_u32 v4, v0, 10, 10
	v_mov_b32_e32 v0, s7
	v_mad_u64_u32 v[0:1], s[0:1], s2, v0, v[4:5]
	v_cmp_gt_i64_e32 vcc, s[24:25], v[2:3]
	v_cmp_gt_i64_e64 s[0:1], s[26:27], v[0:1]
	s_mov_b32 s9, 0
	s_and_b64 s[0:1], vcc, s[0:1]
	s_and_saveexec_b64 s[2:3], s[0:1]
	s_cbranch_execz .LBB56_5
; %bb.1:
	s_load_dwordx16 s[12:27], s[4:5], 0x58
	v_cmp_lt_i64_e64 s[0:1], s[28:29], 1
	v_pk_mov_b32 v[4:5], 0, 0
	s_and_b64 vcc, exec, s[0:1]
	v_pk_mov_b32 v[6:7], v[4:5], v[4:5] op_sel:[0,1]
	s_cbranch_vccnz .LBB56_4
; %bb.2:
	s_load_dwordx8 s[36:43], s[4:5], 0x28
	s_load_dword s6, s[4:5], 0x20
	s_load_dword s7, s[4:5], 0x50
	s_lshl_b64 s[0:1], s[8:9], 3
	s_waitcnt lgkmcnt(0)
	s_add_u32 s0, s36, s0
	s_addc_u32 s1, s37, s1
	s_load_dwordx2 s[2:3], s[0:1], 0x0
	s_bitcmp1_b32 s6, 0
	s_cselect_b64 vcc, -1, 0
	s_bitcmp1_b32 s7, 0
	v_mad_u64_u32 v[4:5], s[6:7], s40, v2, 0
	s_cselect_b64 s[0:1], -1, 0
	v_mul_lo_u32 v6, s41, v2
	v_mul_lo_u32 v7, s40, v3
	s_lshl_b64 s[6:7], s[38:39], 4
	v_add3_u32 v5, v5, v7, v6
	s_waitcnt lgkmcnt(0)
	s_add_u32 s2, s2, s6
	v_lshlrev_b64 v[4:5], 4, v[4:5]
	s_addc_u32 s3, s3, s7
	v_mov_b32_e32 v6, s3
	v_add_co_u32_e64 v4, s[2:3], s2, v4
	v_addc_co_u32_e64 v5, s[2:3], v6, v5, s[2:3]
	v_add_co_u32_e64 v8, s[2:3], 8, v4
	v_addc_co_u32_e64 v9, s[2:3], 0, v5, s[2:3]
	v_mad_u64_u32 v[4:5], s[2:3], s18, v0, 0
	s_mul_i32 s2, s21, s8
	s_mul_hi_u32 s3, s20, s8
	s_add_i32 s3, s3, s2
	s_mul_i32 s2, s20, s8
	s_lshl_b64 s[6:7], s[42:43], 4
	s_lshl_b64 s[2:3], s[2:3], 4
	;; [unrolled: 1-line block ×3, first 2 shown]
	s_add_u32 s9, s12, s10
	v_mul_lo_u32 v6, s19, v0
	v_mul_lo_u32 v7, s18, v1
	s_addc_u32 s10, s13, s11
	v_add3_u32 v5, v5, v7, v6
	s_add_u32 s2, s9, s2
	v_lshlrev_b64 v[4:5], 4, v[4:5]
	s_addc_u32 s3, s10, s3
	v_mov_b32_e32 v6, s3
	v_add_co_u32_e64 v4, s[2:3], s2, v4
	v_addc_co_u32_e64 v5, s[2:3], v6, v5, s[2:3]
	v_add_co_u32_e64 v10, s[2:3], 8, v4
	v_addc_co_u32_e64 v11, s[2:3], 0, v5, s[2:3]
	s_lshl_b64 s[10:11], s[16:17], 4
	v_pk_mov_b32 v[4:5], 0, 0
	v_mov_b32_e32 v12, s7
	v_mov_b32_e32 v13, s11
	v_pk_mov_b32 v[6:7], v[4:5], v[4:5] op_sel:[0,1]
.LBB56_3:                               ; =>This Inner Loop Header: Depth=1
	global_load_dwordx4 v[14:17], v[8:9], off offset:-8
	global_load_dwordx4 v[18:21], v[10:11], off offset:-8
	v_add_co_u32_e64 v8, s[2:3], s6, v8
	s_add_u32 s28, s28, -1
	v_addc_co_u32_e64 v9, s[2:3], v9, v12, s[2:3]
	v_add_co_u32_e64 v10, s[2:3], s10, v10
	s_addc_u32 s29, s29, -1
	v_addc_co_u32_e64 v11, s[2:3], v11, v13, s[2:3]
	s_cmp_eq_u64 s[28:29], 0
	s_waitcnt vmcnt(1)
	v_xor_b32_e32 v22, 0x80000000, v17
	s_waitcnt vmcnt(0)
	v_xor_b32_e32 v23, 0x80000000, v21
	v_cndmask_b32_e32 v17, v17, v22, vcc
	v_cndmask_b32_e64 v21, v21, v23, s[0:1]
	v_mul_f64 v[22:23], v[16:17], v[20:21]
	v_mul_f64 v[16:17], v[16:17], v[18:19]
	v_fma_f64 v[18:19], v[14:15], v[18:19], -v[22:23]
	v_fmac_f64_e32 v[16:17], v[14:15], v[20:21]
	v_add_f64 v[6:7], v[6:7], v[18:19]
	v_add_f64 v[4:5], v[4:5], v[16:17]
	s_cbranch_scc0 .LBB56_3
.LBB56_4:
	s_waitcnt lgkmcnt(0)
	s_load_dwordx4 s[12:15], s[30:31], 0x0
	s_load_dwordx4 s[0:3], s[22:23], 0x0
                                        ; kill: killed $sgpr22_sgpr23
                                        ; kill: killed $sgpr30_sgpr31
	s_load_dwordx2 s[6:7], s[4:5], 0xa8
	s_load_dwordx4 s[16:19], s[4:5], 0x98
	s_waitcnt lgkmcnt(0)
	v_mul_f64 v[10:11], s[14:15], v[4:5]
	v_mul_f64 v[4:5], s[12:13], v[4:5]
	v_fma_f64 v[10:11], s[12:13], v[6:7], -v[10:11]
	s_mul_i32 s5, s8, s7
	s_mul_hi_u32 s7, s8, s6
	s_mul_i32 s4, s8, s6
	s_add_i32 s5, s7, s5
	s_lshl_b64 s[4:5], s[4:5], 4
	s_add_u32 s6, s24, s4
	s_addc_u32 s7, s25, s5
	s_lshl_b64 s[4:5], s[26:27], 4
	s_add_u32 s6, s6, s4
	s_addc_u32 s7, s7, s5
	v_mul_lo_u32 v8, v3, s16
	v_mul_lo_u32 v9, v2, s17
	v_mad_u64_u32 v[2:3], s[4:5], v2, s16, 0
	v_add3_u32 v3, v3, v9, v8
	v_mul_lo_u32 v8, v1, s18
	v_mul_lo_u32 v9, v0, s19
	v_mad_u64_u32 v[0:1], s[4:5], v0, s18, 0
	v_lshlrev_b64 v[2:3], 4, v[2:3]
	v_add3_u32 v1, v1, v9, v8
	v_mov_b32_e32 v8, s7
	v_add_co_u32_e32 v2, vcc, s6, v2
	v_addc_co_u32_e32 v3, vcc, v8, v3, vcc
	v_lshlrev_b64 v[0:1], 4, v[0:1]
	v_add_co_u32_e32 v8, vcc, v2, v0
	v_addc_co_u32_e32 v9, vcc, v3, v1, vcc
	global_load_dwordx4 v[0:3], v[8:9], off
	v_fmac_f64_e32 v[4:5], s[14:15], v[6:7]
	s_waitcnt vmcnt(0)
	v_mul_f64 v[6:7], s[2:3], v[2:3]
	v_mul_f64 v[2:3], s[0:1], v[2:3]
	v_fma_f64 v[6:7], s[0:1], v[0:1], -v[6:7]
	v_fmac_f64_e32 v[2:3], s[2:3], v[0:1]
	v_add_f64 v[0:1], v[10:11], v[6:7]
	v_add_f64 v[2:3], v[4:5], v[2:3]
	global_store_dwordx4 v[8:9], v[0:3], off
.LBB56_5:
	s_endpgm
	.section	.rodata,"a",@progbits
	.p2align	6, 0x0
	.amdhsa_kernel _ZN9rocsolver6v33100L11gemm_kernelI19rocblas_complex_numIdElPKS3_PKPS3_S6_S6_EEvT0_S9_S9_T1_bT2_lS9_S9_lbT3_lS9_S9_lSA_T4_lS9_S9_l
		.amdhsa_group_segment_fixed_size 0
		.amdhsa_private_segment_fixed_size 0
		.amdhsa_kernarg_size 432
		.amdhsa_user_sgpr_count 6
		.amdhsa_user_sgpr_private_segment_buffer 1
		.amdhsa_user_sgpr_dispatch_ptr 0
		.amdhsa_user_sgpr_queue_ptr 0
		.amdhsa_user_sgpr_kernarg_segment_ptr 1
		.amdhsa_user_sgpr_dispatch_id 0
		.amdhsa_user_sgpr_flat_scratch_init 0
		.amdhsa_user_sgpr_kernarg_preload_length 0
		.amdhsa_user_sgpr_kernarg_preload_offset 0
		.amdhsa_user_sgpr_private_segment_size 0
		.amdhsa_uses_dynamic_stack 0
		.amdhsa_system_sgpr_private_segment_wavefront_offset 0
		.amdhsa_system_sgpr_workgroup_id_x 1
		.amdhsa_system_sgpr_workgroup_id_y 1
		.amdhsa_system_sgpr_workgroup_id_z 1
		.amdhsa_system_sgpr_workgroup_info 0
		.amdhsa_system_vgpr_workitem_id 1
		.amdhsa_next_free_vgpr 24
		.amdhsa_next_free_sgpr 44
		.amdhsa_accum_offset 24
		.amdhsa_reserve_vcc 1
		.amdhsa_reserve_flat_scratch 0
		.amdhsa_float_round_mode_32 0
		.amdhsa_float_round_mode_16_64 0
		.amdhsa_float_denorm_mode_32 3
		.amdhsa_float_denorm_mode_16_64 3
		.amdhsa_dx10_clamp 1
		.amdhsa_ieee_mode 1
		.amdhsa_fp16_overflow 0
		.amdhsa_tg_split 0
		.amdhsa_exception_fp_ieee_invalid_op 0
		.amdhsa_exception_fp_denorm_src 0
		.amdhsa_exception_fp_ieee_div_zero 0
		.amdhsa_exception_fp_ieee_overflow 0
		.amdhsa_exception_fp_ieee_underflow 0
		.amdhsa_exception_fp_ieee_inexact 0
		.amdhsa_exception_int_div_zero 0
	.end_amdhsa_kernel
	.section	.text._ZN9rocsolver6v33100L11gemm_kernelI19rocblas_complex_numIdElPKS3_PKPS3_S6_S6_EEvT0_S9_S9_T1_bT2_lS9_S9_lbT3_lS9_S9_lSA_T4_lS9_S9_l,"axG",@progbits,_ZN9rocsolver6v33100L11gemm_kernelI19rocblas_complex_numIdElPKS3_PKPS3_S6_S6_EEvT0_S9_S9_T1_bT2_lS9_S9_lbT3_lS9_S9_lSA_T4_lS9_S9_l,comdat
.Lfunc_end56:
	.size	_ZN9rocsolver6v33100L11gemm_kernelI19rocblas_complex_numIdElPKS3_PKPS3_S6_S6_EEvT0_S9_S9_T1_bT2_lS9_S9_lbT3_lS9_S9_lSA_T4_lS9_S9_l, .Lfunc_end56-_ZN9rocsolver6v33100L11gemm_kernelI19rocblas_complex_numIdElPKS3_PKPS3_S6_S6_EEvT0_S9_S9_T1_bT2_lS9_S9_lbT3_lS9_S9_lSA_T4_lS9_S9_l
                                        ; -- End function
	.section	.AMDGPU.csdata,"",@progbits
; Kernel info:
; codeLenInByte = 868
; NumSgprs: 48
; NumVgprs: 24
; NumAgprs: 0
; TotalNumVgprs: 24
; ScratchSize: 0
; MemoryBound: 0
; FloatMode: 240
; IeeeMode: 1
; LDSByteSize: 0 bytes/workgroup (compile time only)
; SGPRBlocks: 5
; VGPRBlocks: 2
; NumSGPRsForWavesPerEU: 48
; NumVGPRsForWavesPerEU: 24
; AccumOffset: 24
; Occupancy: 8
; WaveLimiterHint : 0
; COMPUTE_PGM_RSRC2:SCRATCH_EN: 0
; COMPUTE_PGM_RSRC2:USER_SGPR: 6
; COMPUTE_PGM_RSRC2:TRAP_HANDLER: 0
; COMPUTE_PGM_RSRC2:TGID_X_EN: 1
; COMPUTE_PGM_RSRC2:TGID_Y_EN: 1
; COMPUTE_PGM_RSRC2:TGID_Z_EN: 1
; COMPUTE_PGM_RSRC2:TIDIG_COMP_CNT: 1
; COMPUTE_PGM_RSRC3_GFX90A:ACCUM_OFFSET: 5
; COMPUTE_PGM_RSRC3_GFX90A:TG_SPLIT: 0
	.section	.text._ZN9rocsolver6v33100L11gemm_kernelI19rocblas_complex_numIdElS3_PKPS3_S4_S4_EEvT0_S7_S7_T1_bT2_lS7_S7_lbT3_lS7_S7_lS8_T4_lS7_S7_l,"axG",@progbits,_ZN9rocsolver6v33100L11gemm_kernelI19rocblas_complex_numIdElS3_PKPS3_S4_S4_EEvT0_S7_S7_T1_bT2_lS7_S7_lbT3_lS7_S7_lS8_T4_lS7_S7_l,comdat
	.globl	_ZN9rocsolver6v33100L11gemm_kernelI19rocblas_complex_numIdElS3_PKPS3_S4_S4_EEvT0_S7_S7_T1_bT2_lS7_S7_lbT3_lS7_S7_lS8_T4_lS7_S7_l ; -- Begin function _ZN9rocsolver6v33100L11gemm_kernelI19rocblas_complex_numIdElS3_PKPS3_S4_S4_EEvT0_S7_S7_T1_bT2_lS7_S7_lbT3_lS7_S7_lS8_T4_lS7_S7_l
	.p2align	8
	.type	_ZN9rocsolver6v33100L11gemm_kernelI19rocblas_complex_numIdElS3_PKPS3_S4_S4_EEvT0_S7_S7_T1_bT2_lS7_S7_lbT3_lS7_S7_lS8_T4_lS7_S7_l,@function
_ZN9rocsolver6v33100L11gemm_kernelI19rocblas_complex_numIdElS3_PKPS3_S4_S4_EEvT0_S7_S7_T1_bT2_lS7_S7_lbT3_lS7_S7_lS8_T4_lS7_S7_l: ; @_ZN9rocsolver6v33100L11gemm_kernelI19rocblas_complex_numIdElS3_PKPS3_S4_S4_EEvT0_S7_S7_T1_bT2_lS7_S7_lbT3_lS7_S7_lS8_T4_lS7_S7_l
; %bb.0:
	s_load_dword s0, s[4:5], 0xcc
	s_load_dwordx8 s[24:31], s[4:5], 0x0
	v_and_b32_e32 v4, 0x3ff, v0
	v_mov_b32_e32 v5, 0
	v_mov_b32_e32 v1, s6
	s_waitcnt lgkmcnt(0)
	s_lshr_b32 s2, s0, 16
	s_and_b32 s0, s0, 0xffff
	v_mad_u64_u32 v[2:3], s[0:1], s0, v1, v[4:5]
	v_bfe_u32 v4, v0, 10, 10
	v_mov_b32_e32 v0, s7
	v_mad_u64_u32 v[0:1], s[0:1], s2, v0, v[4:5]
	v_cmp_gt_i64_e32 vcc, s[24:25], v[2:3]
	v_cmp_gt_i64_e64 s[0:1], s[26:27], v[0:1]
	s_mov_b32 s9, 0
	s_and_b64 s[0:1], vcc, s[0:1]
	s_and_saveexec_b64 s[2:3], s[0:1]
	s_cbranch_execz .LBB57_5
; %bb.1:
	s_load_dwordx2 s[6:7], s[4:5], 0x20
	s_load_dwordx16 s[12:27], s[4:5], 0x60
	v_cmp_lt_i64_e64 s[0:1], s[28:29], 1
	v_pk_mov_b32 v[4:5], 0, 0
	s_and_b64 vcc, exec, s[0:1]
	v_pk_mov_b32 v[6:7], v[4:5], v[4:5] op_sel:[0,1]
	s_cbranch_vccnz .LBB57_4
; %bb.2:
	s_load_dwordx8 s[36:43], s[4:5], 0x30
	s_load_dword s10, s[4:5], 0x28
	s_load_dword s11, s[4:5], 0x58
	s_lshl_b64 s[0:1], s[8:9], 3
	s_waitcnt lgkmcnt(0)
	s_add_u32 s0, s36, s0
	s_addc_u32 s1, s37, s1
	s_load_dwordx2 s[2:3], s[0:1], 0x0
	s_bitcmp1_b32 s10, 0
	s_cselect_b64 vcc, -1, 0
	s_bitcmp1_b32 s11, 0
	v_mad_u64_u32 v[4:5], s[10:11], s40, v2, 0
	s_cselect_b64 s[0:1], -1, 0
	v_mul_lo_u32 v6, s41, v2
	v_mul_lo_u32 v7, s40, v3
	s_lshl_b64 s[10:11], s[38:39], 4
	v_add3_u32 v5, v5, v7, v6
	s_waitcnt lgkmcnt(0)
	s_add_u32 s2, s2, s10
	v_lshlrev_b64 v[4:5], 4, v[4:5]
	s_addc_u32 s3, s3, s11
	v_mov_b32_e32 v6, s3
	v_add_co_u32_e64 v4, s[2:3], s2, v4
	v_addc_co_u32_e64 v5, s[2:3], v6, v5, s[2:3]
	v_add_co_u32_e64 v8, s[2:3], 8, v4
	v_addc_co_u32_e64 v9, s[2:3], 0, v5, s[2:3]
	v_mad_u64_u32 v[4:5], s[2:3], s18, v0, 0
	s_mul_i32 s2, s21, s8
	s_mul_hi_u32 s3, s20, s8
	s_add_i32 s3, s3, s2
	s_mul_i32 s2, s20, s8
	s_lshl_b64 s[10:11], s[42:43], 4
	s_lshl_b64 s[2:3], s[2:3], 4
	;; [unrolled: 1-line block ×3, first 2 shown]
	s_add_u32 s9, s12, s14
	v_mul_lo_u32 v6, s19, v0
	v_mul_lo_u32 v7, s18, v1
	s_addc_u32 s12, s13, s15
	v_add3_u32 v5, v5, v7, v6
	s_add_u32 s2, s9, s2
	v_lshlrev_b64 v[4:5], 4, v[4:5]
	s_addc_u32 s3, s12, s3
	v_mov_b32_e32 v6, s3
	v_add_co_u32_e64 v4, s[2:3], s2, v4
	v_addc_co_u32_e64 v5, s[2:3], v6, v5, s[2:3]
	v_add_co_u32_e64 v10, s[2:3], 8, v4
	v_addc_co_u32_e64 v11, s[2:3], 0, v5, s[2:3]
	s_lshl_b64 s[12:13], s[16:17], 4
	v_pk_mov_b32 v[4:5], 0, 0
	v_mov_b32_e32 v12, s11
	v_mov_b32_e32 v13, s13
	v_pk_mov_b32 v[6:7], v[4:5], v[4:5] op_sel:[0,1]
.LBB57_3:                               ; =>This Inner Loop Header: Depth=1
	global_load_dwordx4 v[14:17], v[8:9], off offset:-8
	global_load_dwordx4 v[18:21], v[10:11], off offset:-8
	v_add_co_u32_e64 v8, s[2:3], s10, v8
	s_add_u32 s28, s28, -1
	v_addc_co_u32_e64 v9, s[2:3], v9, v12, s[2:3]
	v_add_co_u32_e64 v10, s[2:3], s12, v10
	s_addc_u32 s29, s29, -1
	v_addc_co_u32_e64 v11, s[2:3], v11, v13, s[2:3]
	s_cmp_eq_u64 s[28:29], 0
	s_waitcnt vmcnt(1)
	v_xor_b32_e32 v22, 0x80000000, v17
	s_waitcnt vmcnt(0)
	v_xor_b32_e32 v23, 0x80000000, v21
	v_cndmask_b32_e32 v17, v17, v22, vcc
	v_cndmask_b32_e64 v21, v21, v23, s[0:1]
	v_mul_f64 v[22:23], v[16:17], v[20:21]
	v_mul_f64 v[16:17], v[16:17], v[18:19]
	v_fma_f64 v[18:19], v[14:15], v[18:19], -v[22:23]
	v_fmac_f64_e32 v[16:17], v[14:15], v[20:21]
	v_add_f64 v[6:7], v[6:7], v[18:19]
	v_add_f64 v[4:5], v[4:5], v[16:17]
	s_cbranch_scc0 .LBB57_3
.LBB57_4:
	s_waitcnt lgkmcnt(0)
	s_load_dwordx8 s[12:19], s[4:5], 0xa0
	v_mul_f64 v[10:11], s[6:7], v[4:5]
	v_mul_f64 v[4:5], s[30:31], v[4:5]
	v_fma_f64 v[10:11], s[30:31], v[6:7], -v[10:11]
	v_fmac_f64_e32 v[4:5], s[6:7], v[6:7]
	s_waitcnt lgkmcnt(0)
	s_mul_i32 s1, s8, s19
	s_mul_hi_u32 s2, s8, s18
	s_mul_i32 s0, s8, s18
	s_add_i32 s1, s2, s1
	s_lshl_b64 s[0:1], s[0:1], 4
	s_add_u32 s2, s26, s0
	s_addc_u32 s3, s27, s1
	s_lshl_b64 s[0:1], s[12:13], 4
	s_add_u32 s2, s2, s0
	v_mul_lo_u32 v8, v3, s14
	s_addc_u32 s3, s3, s1
	v_mul_lo_u32 v9, v2, s15
	v_mad_u64_u32 v[2:3], s[0:1], v2, s14, 0
	v_add3_u32 v3, v3, v9, v8
	v_mul_lo_u32 v8, v1, s16
	v_mul_lo_u32 v9, v0, s17
	v_mad_u64_u32 v[0:1], s[0:1], v0, s16, 0
	v_lshlrev_b64 v[2:3], 4, v[2:3]
	v_add3_u32 v1, v1, v9, v8
	v_mov_b32_e32 v8, s3
	v_add_co_u32_e32 v2, vcc, s2, v2
	v_addc_co_u32_e32 v3, vcc, v8, v3, vcc
	v_lshlrev_b64 v[0:1], 4, v[0:1]
	v_add_co_u32_e32 v8, vcc, v2, v0
	v_addc_co_u32_e32 v9, vcc, v3, v1, vcc
	global_load_dwordx4 v[0:3], v[8:9], off
	s_waitcnt vmcnt(0)
	v_mul_f64 v[6:7], s[24:25], v[2:3]
	v_mul_f64 v[2:3], s[22:23], v[2:3]
	v_fma_f64 v[6:7], s[22:23], v[0:1], -v[6:7]
	v_fmac_f64_e32 v[2:3], s[24:25], v[0:1]
	v_add_f64 v[0:1], v[10:11], v[6:7]
	v_add_f64 v[2:3], v[4:5], v[2:3]
	global_store_dwordx4 v[8:9], v[0:3], off
.LBB57_5:
	s_endpgm
	.section	.rodata,"a",@progbits
	.p2align	6, 0x0
	.amdhsa_kernel _ZN9rocsolver6v33100L11gemm_kernelI19rocblas_complex_numIdElS3_PKPS3_S4_S4_EEvT0_S7_S7_T1_bT2_lS7_S7_lbT3_lS7_S7_lS8_T4_lS7_S7_l
		.amdhsa_group_segment_fixed_size 0
		.amdhsa_private_segment_fixed_size 0
		.amdhsa_kernarg_size 448
		.amdhsa_user_sgpr_count 6
		.amdhsa_user_sgpr_private_segment_buffer 1
		.amdhsa_user_sgpr_dispatch_ptr 0
		.amdhsa_user_sgpr_queue_ptr 0
		.amdhsa_user_sgpr_kernarg_segment_ptr 1
		.amdhsa_user_sgpr_dispatch_id 0
		.amdhsa_user_sgpr_flat_scratch_init 0
		.amdhsa_user_sgpr_kernarg_preload_length 0
		.amdhsa_user_sgpr_kernarg_preload_offset 0
		.amdhsa_user_sgpr_private_segment_size 0
		.amdhsa_uses_dynamic_stack 0
		.amdhsa_system_sgpr_private_segment_wavefront_offset 0
		.amdhsa_system_sgpr_workgroup_id_x 1
		.amdhsa_system_sgpr_workgroup_id_y 1
		.amdhsa_system_sgpr_workgroup_id_z 1
		.amdhsa_system_sgpr_workgroup_info 0
		.amdhsa_system_vgpr_workitem_id 1
		.amdhsa_next_free_vgpr 24
		.amdhsa_next_free_sgpr 44
		.amdhsa_accum_offset 24
		.amdhsa_reserve_vcc 1
		.amdhsa_reserve_flat_scratch 0
		.amdhsa_float_round_mode_32 0
		.amdhsa_float_round_mode_16_64 0
		.amdhsa_float_denorm_mode_32 3
		.amdhsa_float_denorm_mode_16_64 3
		.amdhsa_dx10_clamp 1
		.amdhsa_ieee_mode 1
		.amdhsa_fp16_overflow 0
		.amdhsa_tg_split 0
		.amdhsa_exception_fp_ieee_invalid_op 0
		.amdhsa_exception_fp_denorm_src 0
		.amdhsa_exception_fp_ieee_div_zero 0
		.amdhsa_exception_fp_ieee_overflow 0
		.amdhsa_exception_fp_ieee_underflow 0
		.amdhsa_exception_fp_ieee_inexact 0
		.amdhsa_exception_int_div_zero 0
	.end_amdhsa_kernel
	.section	.text._ZN9rocsolver6v33100L11gemm_kernelI19rocblas_complex_numIdElS3_PKPS3_S4_S4_EEvT0_S7_S7_T1_bT2_lS7_S7_lbT3_lS7_S7_lS8_T4_lS7_S7_l,"axG",@progbits,_ZN9rocsolver6v33100L11gemm_kernelI19rocblas_complex_numIdElS3_PKPS3_S4_S4_EEvT0_S7_S7_T1_bT2_lS7_S7_lbT3_lS7_S7_lS8_T4_lS7_S7_l,comdat
.Lfunc_end57:
	.size	_ZN9rocsolver6v33100L11gemm_kernelI19rocblas_complex_numIdElS3_PKPS3_S4_S4_EEvT0_S7_S7_T1_bT2_lS7_S7_lbT3_lS7_S7_lS8_T4_lS7_S7_l, .Lfunc_end57-_ZN9rocsolver6v33100L11gemm_kernelI19rocblas_complex_numIdElS3_PKPS3_S4_S4_EEvT0_S7_S7_T1_bT2_lS7_S7_lbT3_lS7_S7_lS8_T4_lS7_S7_l
                                        ; -- End function
	.section	.AMDGPU.csdata,"",@progbits
; Kernel info:
; codeLenInByte = 852
; NumSgprs: 48
; NumVgprs: 24
; NumAgprs: 0
; TotalNumVgprs: 24
; ScratchSize: 0
; MemoryBound: 0
; FloatMode: 240
; IeeeMode: 1
; LDSByteSize: 0 bytes/workgroup (compile time only)
; SGPRBlocks: 5
; VGPRBlocks: 2
; NumSGPRsForWavesPerEU: 48
; NumVGPRsForWavesPerEU: 24
; AccumOffset: 24
; Occupancy: 8
; WaveLimiterHint : 0
; COMPUTE_PGM_RSRC2:SCRATCH_EN: 0
; COMPUTE_PGM_RSRC2:USER_SGPR: 6
; COMPUTE_PGM_RSRC2:TRAP_HANDLER: 0
; COMPUTE_PGM_RSRC2:TGID_X_EN: 1
; COMPUTE_PGM_RSRC2:TGID_Y_EN: 1
; COMPUTE_PGM_RSRC2:TGID_Z_EN: 1
; COMPUTE_PGM_RSRC2:TIDIG_COMP_CNT: 1
; COMPUTE_PGM_RSRC3_GFX90A:ACCUM_OFFSET: 5
; COMPUTE_PGM_RSRC3_GFX90A:TG_SPLIT: 0
	.section	.text._ZN9rocsolver6v33100L16mfma_gemm_kernelI19rocblas_complex_numIdElPKS3_PS3_PKS6_S6_EEv18rocblas_operation_S9_T0_SA_SA_T1_T2_lSA_SA_lT3_lSA_SA_lSB_T4_lSA_SA_l,"axG",@progbits,_ZN9rocsolver6v33100L16mfma_gemm_kernelI19rocblas_complex_numIdElPKS3_PS3_PKS6_S6_EEv18rocblas_operation_S9_T0_SA_SA_T1_T2_lSA_SA_lT3_lSA_SA_lSB_T4_lSA_SA_l,comdat
	.globl	_ZN9rocsolver6v33100L16mfma_gemm_kernelI19rocblas_complex_numIdElPKS3_PS3_PKS6_S6_EEv18rocblas_operation_S9_T0_SA_SA_T1_T2_lSA_SA_lT3_lSA_SA_lSB_T4_lSA_SA_l ; -- Begin function _ZN9rocsolver6v33100L16mfma_gemm_kernelI19rocblas_complex_numIdElPKS3_PS3_PKS6_S6_EEv18rocblas_operation_S9_T0_SA_SA_T1_T2_lSA_SA_lT3_lSA_SA_lSB_T4_lSA_SA_l
	.p2align	8
	.type	_ZN9rocsolver6v33100L16mfma_gemm_kernelI19rocblas_complex_numIdElPKS3_PS3_PKS6_S6_EEv18rocblas_operation_S9_T0_SA_SA_T1_T2_lSA_SA_lT3_lSA_SA_lSB_T4_lSA_SA_l,@function
_ZN9rocsolver6v33100L16mfma_gemm_kernelI19rocblas_complex_numIdElPKS3_PS3_PKS6_S6_EEv18rocblas_operation_S9_T0_SA_SA_T1_T2_lSA_SA_lT3_lSA_SA_lSB_T4_lSA_SA_l: ; @_ZN9rocsolver6v33100L16mfma_gemm_kernelI19rocblas_complex_numIdElPKS3_PS3_PKS6_S6_EEv18rocblas_operation_S9_T0_SA_SA_T1_T2_lSA_SA_lT3_lSA_SA_lSB_T4_lSA_SA_l
; %bb.0:
	s_load_dword s0, s[4:5], 0xb4
	s_load_dwordx16 s[12:27], s[4:5], 0x8
	v_and_b32_e32 v4, 0x3ff, v0
	v_mov_b32_e32 v9, 0
	v_lshrrev_b32_e32 v8, 6, v4
	s_waitcnt lgkmcnt(0)
	s_lshr_b32 s2, s0, 16
	s_bfe_u32 s0, s0, 0xa0006
	v_bfe_u32 v0, v0, 10, 10
	v_mov_b32_e32 v1, v9
	v_mov_b32_e32 v2, s6
	v_mov_b32_e32 v5, s7
	v_mad_u64_u32 v[2:3], s[0:1], s0, v2, v[8:9]
	v_mad_u64_u32 v[0:1], s[0:1], s2, v5, v[0:1]
	v_lshlrev_b64 v[12:13], 4, v[2:3]
	v_lshlrev_b64 v[14:15], 4, v[0:1]
	v_cmp_gt_i64_e32 vcc, s[12:13], v[12:13]
	v_cmp_gt_i64_e64 s[0:1], s[14:15], v[14:15]
	s_and_b64 s[0:1], vcc, s[0:1]
	s_and_saveexec_b64 s[2:3], s[0:1]
	s_cbranch_execz .LBB58_36
; %bb.1:
	s_load_dwordx8 s[36:43], s[4:5], 0x78
	s_load_dwordx4 s[56:59], s[4:5], 0x98
	v_add_co_u32_e32 v6, vcc, 16, v12
	v_addc_co_u32_e32 v7, vcc, 0, v13, vcc
	s_and_b32 s0, s12, 15
	v_mov_b32_e32 v5, s0
	v_cmp_lt_u64_e32 vcc, s[12:13], v[6:7]
	v_cndmask_b32_e32 v8, 16, v5, vcc
	v_add_co_u32_e32 v6, vcc, 16, v14
	s_load_dwordx4 s[52:55], s[18:19], 0x0
	s_waitcnt lgkmcnt(0)
	s_load_dwordx4 s[28:31], s[36:37], 0x0
	v_addc_co_u32_e32 v7, vcc, 0, v15, vcc
	s_and_b32 s0, s14, 15
	v_mov_b32_e32 v5, s0
	v_cmp_lt_u64_e32 vcc, s[14:15], v[6:7]
	v_cndmask_b32_e32 v16, 16, v5, vcc
	v_mov_b32_e32 v17, v9
	v_bfe_u32 v18, v4, 2, 4
	v_mov_b32_e32 v19, v9
	v_cmp_lt_i64_e64 s[0:1], s[16:17], 1
	v_pk_mov_b32 v[34:35], 0, 0
	s_mov_b32 s9, 0
	v_and_b32_e32 v29, 63, v4
	v_and_b32_e32 v10, 3, v4
	v_mov_b32_e32 v11, v9
	s_mov_b64 s[18:19], 0
	s_and_b64 vcc, exec, s[0:1]
	v_cmp_lt_u64_e64 s[0:1], v[18:19], v[16:17]
	v_mbcnt_lo_u32_b32 v46, -1, 0
	v_pk_mov_b32 v[36:37], v[34:35], v[34:35] op_sel:[0,1]
	v_pk_mov_b32 v[20:21], v[34:35], v[34:35] op_sel:[0,1]
	;; [unrolled: 1-line block ×7, first 2 shown]
	s_cbranch_vccnz .LBB58_28
; %bb.2:
	s_load_dwordx2 s[12:13], s[4:5], 0x0
	s_load_dwordx8 s[44:51], s[4:5], 0x48
	s_load_dwordx2 s[14:15], s[4:5], 0x68
	v_mov_b32_e32 v5, 0
	v_and_b32_e32 v4, 15, v29
	s_waitcnt lgkmcnt(0)
	s_cmpk_lg_i32 s12, 0x6f
	s_cselect_b64 s[34:35], -1, 0
	s_cmpk_lg_i32 s13, 0x6f
	s_cselect_b64 s[36:37], -1, 0
	s_lshl_b64 s[2:3], s[8:9], 3
	s_add_u32 s2, s46, s2
	s_addc_u32 s3, s47, s3
	s_cmpk_eq_i32 s13, 0x6f
	s_cselect_b32 s9, s14, s50
	s_cselect_b32 s33, s15, s51
	s_cmpk_eq_i32 s12, 0x6f
	s_cselect_b32 s60, s24, s26
	s_cselect_b32 s61, s25, s27
	v_lshrrev_b32_e32 v28, 4, v29
	v_cmp_lt_u64_e64 s[4:5], v[4:5], v[8:9]
	v_cmp_lt_u64_e64 s[6:7], v[4:5], v[16:17]
	v_mul_lo_u32 v5, s61, v2
	v_mul_lo_u32 v6, s60, v3
	v_mad_u64_u32 v[2:3], s[60:61], s60, v2, 0
	v_add3_u32 v3, v3, v6, v5
	v_mad_u64_u32 v[6:7], s[60:61], s26, v28, 0
	v_mov_b32_e32 v20, v7
	v_mad_u64_u32 v[20:21], s[60:61], s27, v28, v[20:21]
	s_cmpk_eq_i32 s12, 0x71
	v_mov_b32_e32 v7, v20
	s_cselect_b64 s[10:11], -1, 0
	s_cmpk_eq_i32 s13, 0x71
	v_lshlrev_b64 v[2:3], 8, v[2:3]
	v_lshlrev_b64 v[6:7], 4, v[6:7]
	s_mul_i32 s45, s45, s8
	s_mul_hi_u32 s60, s44, s8
	s_cselect_b64 s[12:13], -1, 0
	v_add_co_u32_e32 v5, vcc, v2, v6
	s_add_i32 s45, s60, s45
	s_mul_i32 s44, s44, s8
	v_addc_co_u32_e32 v6, vcc, v3, v7, vcc
	s_lshl_b64 s[44:45], s[44:45], 4
	v_mov_b32_e32 v23, s45
	v_add_co_u32_e32 v5, vcc, s44, v5
	v_addc_co_u32_e32 v24, vcc, v6, v23, vcc
	v_mad_u64_u32 v[6:7], s[60:61], s24, v4, 0
	v_mov_b32_e32 v20, v7
	v_mad_u64_u32 v[20:21], s[60:61], s25, v4, v[20:21]
	v_mov_b32_e32 v7, v20
	v_lshlrev_b64 v[6:7], 4, v[6:7]
	s_lshl_b64 s[22:23], s[22:23], 4
	v_add_co_u32_e32 v5, vcc, v5, v6
	s_add_u32 s45, s20, s22
	v_addc_co_u32_e32 v6, vcc, v24, v7, vcc
	s_addc_u32 s60, s21, s23
	v_mov_b32_e32 v7, s60
	v_add_co_u32_e32 v5, vcc, s45, v5
	v_addc_co_u32_e32 v6, vcc, v7, v6, vcc
	v_add_co_u32_e32 v38, vcc, 8, v5
	v_addc_co_u32_e32 v39, vcc, 0, v6, vcc
	v_mul_lo_u32 v5, s33, v0
	v_mul_lo_u32 v6, s9, v1
	v_mad_u64_u32 v[0:1], s[22:23], s9, v0, 0
	v_add3_u32 v1, v1, v6, v5
	v_mad_u64_u32 v[6:7], s[22:23], s14, v28, 0
	v_mov_b32_e32 v20, v7
	v_mad_u64_u32 v[20:21], s[22:23], s15, v28, v[20:21]
	v_mov_b32_e32 v7, v20
	v_lshlrev_b64 v[0:1], 8, v[0:1]
	v_lshlrev_b64 v[6:7], 4, v[6:7]
	v_add_co_u32_e32 v21, vcc, v0, v6
	s_load_dwordx2 s[46:47], s[2:3], 0x0
	v_addc_co_u32_e32 v24, vcc, v1, v7, vcc
	v_mad_u64_u32 v[6:7], s[22:23], s50, v4, 0
	v_mov_b32_e32 v20, v7
	v_lshl_or_b32 v22, v4, 2, v28
	v_mad_u64_u32 v[4:5], s[22:23], s51, v4, v[20:21]
	v_mov_b32_e32 v7, v4
	s_lshl_b64 s[20:21], s[26:27], 6
	v_lshlrev_b64 v[4:5], 4, v[6:7]
	s_lshl_b64 s[22:23], s[48:49], 4
	v_add_co_u32_e32 v4, vcc, v21, v4
	s_waitcnt lgkmcnt(0)
	s_add_u32 s9, s46, s22
	v_addc_co_u32_e32 v5, vcc, v24, v5, vcc
	s_addc_u32 s33, s47, s23
	v_mov_b32_e32 v6, s33
	v_add_co_u32_e32 v4, vcc, s9, v4
	v_addc_co_u32_e32 v5, vcc, v6, v5, vcc
	v_add_co_u32_e32 v40, vcc, 8, v4
	v_addc_co_u32_e32 v41, vcc, 0, v5, vcc
	v_mad_u64_u32 v[4:5], s[46:47], s26, v18, 0
	v_mov_b32_e32 v6, v5
	v_mad_u64_u32 v[6:7], s[26:27], s27, v18, v[6:7]
	v_mov_b32_e32 v5, v6
	v_lshlrev_b64 v[4:5], 4, v[4:5]
	v_add_co_u32_e32 v2, vcc, v2, v4
	v_addc_co_u32_e32 v3, vcc, v3, v5, vcc
	v_add_co_u32_e32 v6, vcc, s44, v2
	v_addc_co_u32_e32 v7, vcc, v3, v23, vcc
	v_mad_u64_u32 v[2:3], s[26:27], s24, v10, 0
	v_mov_b32_e32 v4, v3
	v_mad_u64_u32 v[4:5], s[26:27], s25, v10, v[4:5]
	v_mov_b32_e32 v3, v4
	v_lshlrev_b64 v[2:3], 4, v[2:3]
	v_add_co_u32_e32 v2, vcc, v6, v2
	v_addc_co_u32_e32 v3, vcc, v7, v3, vcc
	v_mov_b32_e32 v4, s60
	v_add_co_u32_e32 v2, vcc, s45, v2
	v_addc_co_u32_e32 v3, vcc, v4, v3, vcc
	v_add_co_u32_e32 v42, vcc, 8, v2
	v_addc_co_u32_e32 v43, vcc, 0, v3, vcc
	v_mad_u64_u32 v[2:3], s[26:27], s14, v18, 0
	v_mov_b32_e32 v4, v3
	s_lshl_b64 s[22:23], s[14:15], 6
	v_mad_u64_u32 v[4:5], s[14:15], s15, v18, v[4:5]
	v_mov_b32_e32 v3, v4
	v_lshlrev_b64 v[2:3], 4, v[2:3]
	v_add_co_u32_e32 v4, vcc, v0, v2
	v_addc_co_u32_e32 v5, vcc, v1, v3, vcc
	v_mad_u64_u32 v[0:1], s[14:15], s50, v10, 0
	v_mov_b32_e32 v2, v1
	v_mad_u64_u32 v[2:3], s[14:15], s51, v10, v[2:3]
	v_mov_b32_e32 v1, v2
	v_lshlrev_b64 v[0:1], 4, v[0:1]
	v_add_co_u32_e32 v0, vcc, v4, v0
	v_addc_co_u32_e32 v1, vcc, v5, v1, vcc
	v_mov_b32_e32 v2, s33
	v_add_co_u32_e32 v0, vcc, s9, v0
	v_addc_co_u32_e32 v1, vcc, v2, v1, vcc
	v_add_co_u32_e32 v44, vcc, 8, v0
	v_mbcnt_hi_u32_b32 v0, -1, v46
	v_pk_mov_b32 v[20:21], 0, 0
	v_and_or_b32 v0, v0, 64, v22
	v_cmp_lt_u64_e64 s[2:3], v[18:19], v[8:9]
	s_lshl_b64 s[24:25], s[24:25], 6
	v_addc_co_u32_e32 v45, vcc, 0, v1, vcc
	s_lshl_b64 s[26:27], s[50:51], 6
	v_lshlrev_b32_e32 v47, 2, v0
	v_pk_mov_b32 v[24:25], v[20:21], v[20:21] op_sel:[0,1]
	v_pk_mov_b32 v[30:31], v[20:21], v[20:21] op_sel:[0,1]
	;; [unrolled: 1-line block ×7, first 2 shown]
	s_branch .LBB58_6
.LBB58_3:                               ;   in Loop: Header=BB58_6 Depth=1
	s_or_b64 exec, exec, s[44:45]
.LBB58_4:                               ;   in Loop: Header=BB58_6 Depth=1
	s_or_b64 exec, exec, s[14:15]
	s_waitcnt vmcnt(0)
	ds_bpermute_b32 v4, v47, v4
	ds_bpermute_b32 v5, v47, v5
	ds_bpermute_b32 v6, v47, v6
	ds_bpermute_b32 v7, v47, v7
.LBB58_5:                               ;   in Loop: Header=BB58_6 Depth=1
	s_waitcnt vmcnt(0) lgkmcnt(0)
	v_xor_b32_e32 v48, 0x80000000, v3
	v_cndmask_b32_e64 v3, v3, v48, s[10:11]
	v_cndmask_b32_e64 v2, v2, v2, s[10:11]
	v_xor_b32_e32 v48, 0x80000000, v7
	v_cndmask_b32_e64 v7, v7, v48, s[12:13]
	v_cndmask_b32_e64 v6, v6, v6, s[12:13]
	v_mfma_f64_16x16x4f64 v[48:55], v[0:1], v[4:5], 0
	s_add_u32 s18, s18, 4
	s_addc_u32 s19, s19, 0
	v_add_co_u32_e64 v38, s[14:15], s20, v38
	v_mfma_f64_16x16x4f64 v[56:63], v[2:3], v[6:7], 0
	s_nop 7
	s_nop 2
	v_add_f64 v[54:55], v[54:55], -v[62:63]
	v_pk_mov_b32 v[62:63], s[16:17], s[16:17] op_sel:[0,1]
	v_cmp_ge_i64_e32 vcc, s[18:19], v[62:63]
	v_mfma_f64_16x16x4f64 v[62:69], v[0:1], v[6:7], 0
	s_and_b64 vcc, exec, vcc
	v_add_f64 v[52:53], v[52:53], -v[60:61]
	v_add_f64 v[50:51], v[50:51], -v[58:59]
	;; [unrolled: 1-line block ×3, first 2 shown]
	v_add_f64 v[34:35], v[34:35], v[48:49]
	v_add_f64 v[32:33], v[32:33], v[50:51]
	;; [unrolled: 1-line block ×4, first 2 shown]
	v_mfma_f64_16x16x4f64 v[0:7], v[2:3], v[4:5], 0
	s_nop 7
	s_nop 2
	v_add_f64 v[0:1], v[62:63], v[0:1]
	v_add_f64 v[36:37], v[36:37], v[0:1]
	v_mov_b32_e32 v0, s21
	v_addc_co_u32_e64 v39, s[14:15], v39, v0, s[14:15]
	v_mov_b32_e32 v0, s23
	v_add_co_u32_e64 v40, s[14:15], s22, v40
	v_addc_co_u32_e64 v41, s[14:15], v41, v0, s[14:15]
	v_mov_b32_e32 v0, s25
	v_add_co_u32_e64 v42, s[14:15], s24, v42
	v_addc_co_u32_e64 v43, s[14:15], v43, v0, s[14:15]
	v_add_f64 v[6:7], v[68:69], v[6:7]
	v_add_f64 v[4:5], v[66:67], v[4:5]
	;; [unrolled: 1-line block ×3, first 2 shown]
	v_mov_b32_e32 v0, s27
	v_add_co_u32_e64 v44, s[14:15], s26, v44
	v_add_f64 v[30:31], v[30:31], v[2:3]
	v_add_f64 v[24:25], v[24:25], v[4:5]
	;; [unrolled: 1-line block ×3, first 2 shown]
	v_addc_co_u32_e64 v45, s[14:15], v45, v0, s[14:15]
	s_cbranch_vccnz .LBB58_28
.LBB58_6:                               ; =>This Inner Loop Header: Depth=1
	s_and_b64 vcc, exec, s[34:35]
	s_cbranch_vccz .LBB58_18
; %bb.7:                                ;   in Loop: Header=BB58_6 Depth=1
	v_pk_mov_b32 v[0:1], 0, 0
	s_mov_b64 s[14:15], 0
	v_pk_mov_b32 v[2:3], v[0:1], v[0:1] op_sel:[0,1]
	s_and_saveexec_b64 s[44:45], s[2:3]
	s_cbranch_execz .LBB58_11
; %bb.8:                                ;   in Loop: Header=BB58_6 Depth=1
	v_mov_b32_e32 v1, s19
	v_add_co_u32_e32 v0, vcc, s18, v10
	v_addc_co_u32_e32 v1, vcc, 0, v1, vcc
	v_pk_mov_b32 v[2:3], 0, 0
	v_cmp_gt_i64_e32 vcc, s[16:17], v[0:1]
	v_pk_mov_b32 v[0:1], v[2:3], v[2:3] op_sel:[0,1]
	s_and_saveexec_b64 s[46:47], vcc
	s_cbranch_execz .LBB58_10
; %bb.9:                                ;   in Loop: Header=BB58_6 Depth=1
	global_load_dwordx4 v[0:3], v[42:43], off offset:-8
.LBB58_10:                              ;   in Loop: Header=BB58_6 Depth=1
	s_or_b64 exec, exec, s[46:47]
.LBB58_11:                              ;   in Loop: Header=BB58_6 Depth=1
	s_or_b64 exec, exec, s[44:45]
	s_waitcnt vmcnt(0)
	ds_bpermute_b32 v0, v47, v0
	ds_bpermute_b32 v1, v47, v1
	;; [unrolled: 1-line block ×4, first 2 shown]
	s_and_b64 vcc, exec, s[14:15]
	s_cbranch_vccnz .LBB58_19
.LBB58_12:                              ;   in Loop: Header=BB58_6 Depth=1
	s_and_b64 vcc, exec, s[36:37]
	s_cbranch_vccz .LBB58_24
.LBB58_13:                              ;   in Loop: Header=BB58_6 Depth=1
	v_pk_mov_b32 v[6:7], 0, 0
	s_mov_b64 s[14:15], 0
	v_pk_mov_b32 v[4:5], v[6:7], v[6:7] op_sel:[0,1]
	s_and_saveexec_b64 s[44:45], s[6:7]
	s_cbranch_execz .LBB58_17
; %bb.14:                               ;   in Loop: Header=BB58_6 Depth=1
	v_mov_b32_e32 v5, s19
	v_add_co_u32_e32 v4, vcc, s18, v28
	v_addc_co_u32_e32 v5, vcc, 0, v5, vcc
	v_pk_mov_b32 v[6:7], 0, 0
	v_cmp_gt_i64_e32 vcc, s[16:17], v[4:5]
	v_pk_mov_b32 v[4:5], v[6:7], v[6:7] op_sel:[0,1]
	s_and_saveexec_b64 s[46:47], vcc
	s_cbranch_execz .LBB58_16
; %bb.15:                               ;   in Loop: Header=BB58_6 Depth=1
	global_load_dwordx4 v[4:7], v[40:41], off offset:-8
.LBB58_16:                              ;   in Loop: Header=BB58_6 Depth=1
	s_or_b64 exec, exec, s[46:47]
.LBB58_17:                              ;   in Loop: Header=BB58_6 Depth=1
	s_or_b64 exec, exec, s[44:45]
	s_andn2_b64 vcc, exec, s[14:15]
	s_cbranch_vccnz .LBB58_5
	s_branch .LBB58_25
.LBB58_18:                              ;   in Loop: Header=BB58_6 Depth=1
                                        ; implicit-def: $vgpr2_vgpr3
	s_cbranch_execz .LBB58_12
.LBB58_19:                              ;   in Loop: Header=BB58_6 Depth=1
	s_waitcnt lgkmcnt(0)
	v_pk_mov_b32 v[2:3], 0, 0
	v_pk_mov_b32 v[0:1], v[2:3], v[2:3] op_sel:[0,1]
	s_and_saveexec_b64 s[14:15], s[4:5]
	s_cbranch_execz .LBB58_23
; %bb.20:                               ;   in Loop: Header=BB58_6 Depth=1
	v_mov_b32_e32 v1, s19
	v_add_co_u32_e32 v0, vcc, s18, v28
	v_addc_co_u32_e32 v1, vcc, 0, v1, vcc
	v_pk_mov_b32 v[2:3], 0, 0
	v_cmp_gt_i64_e32 vcc, s[16:17], v[0:1]
	v_pk_mov_b32 v[0:1], v[2:3], v[2:3] op_sel:[0,1]
	s_and_saveexec_b64 s[44:45], vcc
	s_cbranch_execz .LBB58_22
; %bb.21:                               ;   in Loop: Header=BB58_6 Depth=1
	global_load_dwordx4 v[0:3], v[38:39], off offset:-8
.LBB58_22:                              ;   in Loop: Header=BB58_6 Depth=1
	s_or_b64 exec, exec, s[44:45]
.LBB58_23:                              ;   in Loop: Header=BB58_6 Depth=1
	s_or_b64 exec, exec, s[14:15]
	s_and_b64 vcc, exec, s[36:37]
	s_cbranch_vccnz .LBB58_13
.LBB58_24:                              ;   in Loop: Header=BB58_6 Depth=1
                                        ; implicit-def: $vgpr6_vgpr7
.LBB58_25:                              ;   in Loop: Header=BB58_6 Depth=1
	s_waitcnt vmcnt(0)
	v_pk_mov_b32 v[4:5], 0, 0
	v_pk_mov_b32 v[6:7], v[4:5], v[4:5] op_sel:[0,1]
	s_and_saveexec_b64 s[14:15], s[0:1]
	s_cbranch_execz .LBB58_4
; %bb.26:                               ;   in Loop: Header=BB58_6 Depth=1
	v_mov_b32_e32 v5, s19
	v_add_co_u32_e32 v4, vcc, s18, v10
	v_addc_co_u32_e32 v5, vcc, 0, v5, vcc
	v_pk_mov_b32 v[6:7], 0, 0
	v_cmp_gt_i64_e32 vcc, s[16:17], v[4:5]
	v_pk_mov_b32 v[4:5], v[6:7], v[6:7] op_sel:[0,1]
	s_and_saveexec_b64 s[44:45], vcc
	s_cbranch_execz .LBB58_3
; %bb.27:                               ;   in Loop: Header=BB58_6 Depth=1
	global_load_dwordx4 v[4:7], v[44:45], off offset:-8
	s_branch .LBB58_3
.LBB58_28:
	s_mul_i32 s0, s8, s59
	s_mul_hi_u32 s1, s8, s58
	s_add_i32 s1, s1, s0
	s_mul_i32 s0, s8, s58
	s_lshl_b64 s[0:1], s[0:1], 4
	s_add_u32 s2, s38, s0
	s_addc_u32 s3, s39, s1
	s_lshl_b64 s[0:1], s[40:41], 4
	s_add_u32 s2, s2, s0
	s_addc_u32 s3, s3, s1
	v_mul_lo_u32 v2, v15, s56
	v_mul_lo_u32 v3, v14, s57
	v_mad_u64_u32 v[0:1], s[0:1], v14, s56, 0
	v_add3_u32 v1, v1, v3, v2
	v_mul_lo_u32 v4, v13, s42
	v_mul_lo_u32 v5, v12, s43
	v_mad_u64_u32 v[2:3], s[0:1], v12, s42, 0
	v_lshlrev_b64 v[0:1], 4, v[0:1]
	v_add3_u32 v3, v3, v5, v4
	v_mov_b32_e32 v4, s3
	v_add_co_u32_e32 v5, vcc, s2, v0
	v_addc_co_u32_e32 v4, vcc, v4, v1, vcc
	v_lshlrev_b64 v[0:1], 4, v[2:3]
	v_add_co_u32_e32 v6, vcc, v5, v0
	v_lshl_or_b32 v0, v29, 4, v18
	v_addc_co_u32_e32 v7, vcc, v4, v1, vcc
	v_mbcnt_hi_u32_b32 v1, -1, v46
	v_and_b32_e32 v0, 63, v0
	v_and_or_b32 v0, v1, 64, v0
	v_lshlrev_b32_e32 v12, 2, v0
	v_mad_u64_u32 v[0:1], s[0:1], v18, s56, 0
	v_mov_b32_e32 v2, v1
	v_mad_u64_u32 v[2:3], s[0:1], v18, s57, v[2:3]
	v_mov_b32_e32 v1, v2
	v_lshlrev_b64 v[4:5], 4, v[0:1]
	ds_bpermute_b32 v0, v12, v34
	ds_bpermute_b32 v1, v12, v35
	;; [unrolled: 1-line block ×4, first 2 shown]
	v_add_co_u32_e64 v6, s[0:1], v6, v4
	v_addc_co_u32_e64 v7, s[0:1], v7, v5, s[0:1]
	v_cmp_lt_u64_e32 vcc, v[18:19], v[16:17]
	v_cmp_lt_u64_e64 s[0:1], v[10:11], v[8:9]
	s_and_b64 s[0:1], vcc, s[0:1]
	s_and_saveexec_b64 s[2:3], s[0:1]
	s_cbranch_execz .LBB58_30
; %bb.29:
	v_mad_u64_u32 v[4:5], s[0:1], v10, s42, 0
	v_mov_b32_e32 v14, v5
	v_mad_u64_u32 v[14:15], s[0:1], v10, s43, v[14:15]
	v_mov_b32_e32 v5, v14
	v_lshlrev_b64 v[4:5], 4, v[4:5]
	v_add_co_u32_e64 v4, s[0:1], v6, v4
	v_addc_co_u32_e64 v5, s[0:1], v7, v5, s[0:1]
	global_load_dwordx4 v[14:17], v[4:5], off
	s_waitcnt lgkmcnt(0)
	v_mul_f64 v[18:19], s[54:55], v[2:3]
	v_mul_f64 v[2:3], s[52:53], v[2:3]
	v_fma_f64 v[18:19], s[52:53], v[0:1], -v[18:19]
	v_fmac_f64_e32 v[2:3], s[54:55], v[0:1]
	s_waitcnt vmcnt(0)
	v_mul_f64 v[0:1], s[30:31], v[16:17]
	v_mul_f64 v[16:17], s[28:29], v[16:17]
	v_fma_f64 v[0:1], s[28:29], v[14:15], -v[0:1]
	v_fmac_f64_e32 v[16:17], s[30:31], v[14:15]
	v_add_f64 v[0:1], v[18:19], v[0:1]
	v_add_f64 v[2:3], v[2:3], v[16:17]
	global_store_dwordx4 v[4:5], v[0:3], off
.LBB58_30:
	s_or_b64 exec, exec, s[2:3]
	s_waitcnt lgkmcnt(0)
	ds_bpermute_b32 v0, v12, v32
	ds_bpermute_b32 v1, v12, v33
	;; [unrolled: 1-line block ×4, first 2 shown]
	v_or_b32_e32 v4, 4, v10
	v_mov_b32_e32 v5, v11
	v_cmp_lt_u64_e64 s[0:1], v[4:5], v[8:9]
	s_and_b64 s[0:1], vcc, s[0:1]
	s_and_saveexec_b64 s[2:3], s[0:1]
	s_cbranch_execz .LBB58_32
; %bb.31:
	v_mad_u64_u32 v[14:15], s[0:1], v4, s42, 0
	v_mov_b32_e32 v16, v15
	v_mad_u64_u32 v[4:5], s[0:1], v4, s43, v[16:17]
	v_mov_b32_e32 v15, v4
	v_lshlrev_b64 v[4:5], 4, v[14:15]
	v_add_co_u32_e64 v4, s[0:1], v6, v4
	v_addc_co_u32_e64 v5, s[0:1], v7, v5, s[0:1]
	global_load_dwordx4 v[14:17], v[4:5], off
	s_waitcnt lgkmcnt(0)
	v_mul_f64 v[18:19], s[54:55], v[2:3]
	v_mul_f64 v[2:3], s[52:53], v[2:3]
	v_fma_f64 v[18:19], s[52:53], v[0:1], -v[18:19]
	v_fmac_f64_e32 v[2:3], s[54:55], v[0:1]
	s_waitcnt vmcnt(0)
	v_mul_f64 v[0:1], s[30:31], v[16:17]
	v_mul_f64 v[16:17], s[28:29], v[16:17]
	v_fma_f64 v[0:1], s[28:29], v[14:15], -v[0:1]
	v_fmac_f64_e32 v[16:17], s[30:31], v[14:15]
	v_add_f64 v[0:1], v[18:19], v[0:1]
	v_add_f64 v[2:3], v[2:3], v[16:17]
	global_store_dwordx4 v[4:5], v[0:3], off
.LBB58_32:
	s_or_b64 exec, exec, s[2:3]
	s_waitcnt lgkmcnt(3)
	ds_bpermute_b32 v0, v12, v26
	s_waitcnt lgkmcnt(3)
	ds_bpermute_b32 v1, v12, v27
	s_waitcnt lgkmcnt(3)
	ds_bpermute_b32 v2, v12, v24
	s_waitcnt lgkmcnt(3)
	ds_bpermute_b32 v3, v12, v25
	v_or_b32_e32 v4, 8, v10
	v_mov_b32_e32 v5, v11
	v_cmp_lt_u64_e64 s[0:1], v[4:5], v[8:9]
	s_and_b64 s[0:1], vcc, s[0:1]
	s_and_saveexec_b64 s[2:3], s[0:1]
	s_cbranch_execz .LBB58_34
; %bb.33:
	v_mad_u64_u32 v[14:15], s[0:1], v4, s42, 0
	v_mov_b32_e32 v16, v15
	v_mad_u64_u32 v[4:5], s[0:1], v4, s43, v[16:17]
	v_mov_b32_e32 v15, v4
	v_lshlrev_b64 v[4:5], 4, v[14:15]
	v_add_co_u32_e64 v4, s[0:1], v6, v4
	v_addc_co_u32_e64 v5, s[0:1], v7, v5, s[0:1]
	global_load_dwordx4 v[14:17], v[4:5], off
	s_waitcnt lgkmcnt(0)
	v_mul_f64 v[18:19], s[54:55], v[2:3]
	v_mul_f64 v[2:3], s[52:53], v[2:3]
	v_fma_f64 v[18:19], s[52:53], v[0:1], -v[18:19]
	v_fmac_f64_e32 v[2:3], s[54:55], v[0:1]
	s_waitcnt vmcnt(0)
	v_mul_f64 v[0:1], s[30:31], v[16:17]
	v_mul_f64 v[16:17], s[28:29], v[16:17]
	v_fma_f64 v[0:1], s[28:29], v[14:15], -v[0:1]
	v_fmac_f64_e32 v[16:17], s[30:31], v[14:15]
	v_add_f64 v[0:1], v[18:19], v[0:1]
	v_add_f64 v[2:3], v[2:3], v[16:17]
	global_store_dwordx4 v[4:5], v[0:3], off
.LBB58_34:
	s_or_b64 exec, exec, s[2:3]
	s_waitcnt lgkmcnt(3)
	ds_bpermute_b32 v0, v12, v22
	s_waitcnt lgkmcnt(3)
	ds_bpermute_b32 v1, v12, v23
	;; [unrolled: 2-line block ×4, first 2 shown]
	v_or_b32_e32 v10, 12, v10
	v_cmp_lt_u64_e64 s[0:1], v[10:11], v[8:9]
	s_and_b64 s[0:1], vcc, s[0:1]
	s_and_b64 exec, exec, s[0:1]
	s_cbranch_execz .LBB58_36
; %bb.35:
	v_mad_u64_u32 v[4:5], s[0:1], v10, s42, 0
	v_mov_b32_e32 v8, v5
	v_mad_u64_u32 v[8:9], s[0:1], v10, s43, v[8:9]
	v_mov_b32_e32 v5, v8
	v_lshlrev_b64 v[4:5], 4, v[4:5]
	v_add_co_u32_e32 v8, vcc, v6, v4
	v_addc_co_u32_e32 v9, vcc, v7, v5, vcc
	global_load_dwordx4 v[4:7], v[8:9], off
	s_waitcnt lgkmcnt(0)
	v_mul_f64 v[10:11], s[54:55], v[2:3]
	v_mul_f64 v[2:3], s[52:53], v[2:3]
	v_fma_f64 v[10:11], s[52:53], v[0:1], -v[10:11]
	v_fmac_f64_e32 v[2:3], s[54:55], v[0:1]
	s_waitcnt vmcnt(0)
	v_mul_f64 v[0:1], s[30:31], v[6:7]
	v_mul_f64 v[6:7], s[28:29], v[6:7]
	v_fma_f64 v[0:1], s[28:29], v[4:5], -v[0:1]
	v_fmac_f64_e32 v[6:7], s[30:31], v[4:5]
	v_add_f64 v[0:1], v[10:11], v[0:1]
	v_add_f64 v[2:3], v[2:3], v[6:7]
	global_store_dwordx4 v[8:9], v[0:3], off
.LBB58_36:
	s_endpgm
	.section	.rodata,"a",@progbits
	.p2align	6, 0x0
	.amdhsa_kernel _ZN9rocsolver6v33100L16mfma_gemm_kernelI19rocblas_complex_numIdElPKS3_PS3_PKS6_S6_EEv18rocblas_operation_S9_T0_SA_SA_T1_T2_lSA_SA_lT3_lSA_SA_lSB_T4_lSA_SA_l
		.amdhsa_group_segment_fixed_size 0
		.amdhsa_private_segment_fixed_size 0
		.amdhsa_kernarg_size 424
		.amdhsa_user_sgpr_count 6
		.amdhsa_user_sgpr_private_segment_buffer 1
		.amdhsa_user_sgpr_dispatch_ptr 0
		.amdhsa_user_sgpr_queue_ptr 0
		.amdhsa_user_sgpr_kernarg_segment_ptr 1
		.amdhsa_user_sgpr_dispatch_id 0
		.amdhsa_user_sgpr_flat_scratch_init 0
		.amdhsa_user_sgpr_kernarg_preload_length 0
		.amdhsa_user_sgpr_kernarg_preload_offset 0
		.amdhsa_user_sgpr_private_segment_size 0
		.amdhsa_uses_dynamic_stack 0
		.amdhsa_system_sgpr_private_segment_wavefront_offset 0
		.amdhsa_system_sgpr_workgroup_id_x 1
		.amdhsa_system_sgpr_workgroup_id_y 1
		.amdhsa_system_sgpr_workgroup_id_z 1
		.amdhsa_system_sgpr_workgroup_info 0
		.amdhsa_system_vgpr_workitem_id 1
		.amdhsa_next_free_vgpr 70
		.amdhsa_next_free_sgpr 62
		.amdhsa_accum_offset 72
		.amdhsa_reserve_vcc 1
		.amdhsa_reserve_flat_scratch 0
		.amdhsa_float_round_mode_32 0
		.amdhsa_float_round_mode_16_64 0
		.amdhsa_float_denorm_mode_32 3
		.amdhsa_float_denorm_mode_16_64 3
		.amdhsa_dx10_clamp 1
		.amdhsa_ieee_mode 1
		.amdhsa_fp16_overflow 0
		.amdhsa_tg_split 0
		.amdhsa_exception_fp_ieee_invalid_op 0
		.amdhsa_exception_fp_denorm_src 0
		.amdhsa_exception_fp_ieee_div_zero 0
		.amdhsa_exception_fp_ieee_overflow 0
		.amdhsa_exception_fp_ieee_underflow 0
		.amdhsa_exception_fp_ieee_inexact 0
		.amdhsa_exception_int_div_zero 0
	.end_amdhsa_kernel
	.section	.text._ZN9rocsolver6v33100L16mfma_gemm_kernelI19rocblas_complex_numIdElPKS3_PS3_PKS6_S6_EEv18rocblas_operation_S9_T0_SA_SA_T1_T2_lSA_SA_lT3_lSA_SA_lSB_T4_lSA_SA_l,"axG",@progbits,_ZN9rocsolver6v33100L16mfma_gemm_kernelI19rocblas_complex_numIdElPKS3_PS3_PKS6_S6_EEv18rocblas_operation_S9_T0_SA_SA_T1_T2_lSA_SA_lT3_lSA_SA_lSB_T4_lSA_SA_l,comdat
.Lfunc_end58:
	.size	_ZN9rocsolver6v33100L16mfma_gemm_kernelI19rocblas_complex_numIdElPKS3_PS3_PKS6_S6_EEv18rocblas_operation_S9_T0_SA_SA_T1_T2_lSA_SA_lT3_lSA_SA_lSB_T4_lSA_SA_l, .Lfunc_end58-_ZN9rocsolver6v33100L16mfma_gemm_kernelI19rocblas_complex_numIdElPKS3_PS3_PKS6_S6_EEv18rocblas_operation_S9_T0_SA_SA_T1_T2_lSA_SA_lT3_lSA_SA_lSB_T4_lSA_SA_l
                                        ; -- End function
	.section	.AMDGPU.csdata,"",@progbits
; Kernel info:
; codeLenInByte = 3008
; NumSgprs: 66
; NumVgprs: 70
; NumAgprs: 0
; TotalNumVgprs: 70
; ScratchSize: 0
; MemoryBound: 1
; FloatMode: 240
; IeeeMode: 1
; LDSByteSize: 0 bytes/workgroup (compile time only)
; SGPRBlocks: 8
; VGPRBlocks: 8
; NumSGPRsForWavesPerEU: 66
; NumVGPRsForWavesPerEU: 70
; AccumOffset: 72
; Occupancy: 7
; WaveLimiterHint : 1
; COMPUTE_PGM_RSRC2:SCRATCH_EN: 0
; COMPUTE_PGM_RSRC2:USER_SGPR: 6
; COMPUTE_PGM_RSRC2:TRAP_HANDLER: 0
; COMPUTE_PGM_RSRC2:TGID_X_EN: 1
; COMPUTE_PGM_RSRC2:TGID_Y_EN: 1
; COMPUTE_PGM_RSRC2:TGID_Z_EN: 1
; COMPUTE_PGM_RSRC2:TIDIG_COMP_CNT: 1
; COMPUTE_PGM_RSRC3_GFX90A:ACCUM_OFFSET: 17
; COMPUTE_PGM_RSRC3_GFX90A:TG_SPLIT: 0
	.section	.text._ZN9rocsolver6v33100L16mfma_gemm_kernelI19rocblas_complex_numIdElS3_PS3_PKS4_S4_EEv18rocblas_operation_S7_T0_S8_S8_T1_T2_lS8_S8_lT3_lS8_S8_lS9_T4_lS8_S8_l,"axG",@progbits,_ZN9rocsolver6v33100L16mfma_gemm_kernelI19rocblas_complex_numIdElS3_PS3_PKS4_S4_EEv18rocblas_operation_S7_T0_S8_S8_T1_T2_lS8_S8_lT3_lS8_S8_lS9_T4_lS8_S8_l,comdat
	.globl	_ZN9rocsolver6v33100L16mfma_gemm_kernelI19rocblas_complex_numIdElS3_PS3_PKS4_S4_EEv18rocblas_operation_S7_T0_S8_S8_T1_T2_lS8_S8_lT3_lS8_S8_lS9_T4_lS8_S8_l ; -- Begin function _ZN9rocsolver6v33100L16mfma_gemm_kernelI19rocblas_complex_numIdElS3_PS3_PKS4_S4_EEv18rocblas_operation_S7_T0_S8_S8_T1_T2_lS8_S8_lT3_lS8_S8_lS9_T4_lS8_S8_l
	.p2align	8
	.type	_ZN9rocsolver6v33100L16mfma_gemm_kernelI19rocblas_complex_numIdElS3_PS3_PKS4_S4_EEv18rocblas_operation_S7_T0_S8_S8_T1_T2_lS8_S8_lT3_lS8_S8_lS9_T4_lS8_S8_l,@function
_ZN9rocsolver6v33100L16mfma_gemm_kernelI19rocblas_complex_numIdElS3_PS3_PKS4_S4_EEv18rocblas_operation_S7_T0_S8_S8_T1_T2_lS8_S8_lT3_lS8_S8_lS9_T4_lS8_S8_l: ; @_ZN9rocsolver6v33100L16mfma_gemm_kernelI19rocblas_complex_numIdElS3_PS3_PKS4_S4_EEv18rocblas_operation_S7_T0_S8_S8_T1_T2_lS8_S8_lT3_lS8_S8_lS9_T4_lS8_S8_l
; %bb.0:
	s_load_dword s0, s[4:5], 0xc4
	s_load_dwordx16 s[12:27], s[4:5], 0x8
	v_and_b32_e32 v4, 0x3ff, v0
	v_mov_b32_e32 v9, 0
	v_lshrrev_b32_e32 v8, 6, v4
	s_waitcnt lgkmcnt(0)
	s_lshr_b32 s2, s0, 16
	s_bfe_u32 s0, s0, 0xa0006
	v_bfe_u32 v0, v0, 10, 10
	v_mov_b32_e32 v1, v9
	v_mov_b32_e32 v2, s6
	;; [unrolled: 1-line block ×3, first 2 shown]
	v_mad_u64_u32 v[2:3], s[0:1], s0, v2, v[8:9]
	v_mad_u64_u32 v[0:1], s[0:1], s2, v5, v[0:1]
	v_lshlrev_b64 v[12:13], 4, v[2:3]
	v_lshlrev_b64 v[16:17], 4, v[0:1]
	v_cmp_gt_i64_e32 vcc, s[12:13], v[12:13]
	v_cmp_gt_i64_e64 s[0:1], s[14:15], v[16:17]
	s_and_b64 s[0:1], vcc, s[0:1]
	s_and_saveexec_b64 s[2:3], s[0:1]
	s_cbranch_execz .LBB59_36
; %bb.1:
	v_add_co_u32_e32 v6, vcc, 16, v12
	v_addc_co_u32_e32 v7, vcc, 0, v13, vcc
	s_and_b32 s0, s12, 15
	s_load_dwordx8 s[36:43], s[4:5], 0x80
	s_load_dwordx4 s[28:31], s[4:5], 0xa0
	s_load_dwordx2 s[34:35], s[4:5], 0xb0
	v_mov_b32_e32 v5, s0
	v_cmp_lt_u64_e32 vcc, s[12:13], v[6:7]
	v_cndmask_b32_e32 v8, 16, v5, vcc
	v_add_co_u32_e32 v6, vcc, 16, v16
	v_addc_co_u32_e32 v7, vcc, 0, v17, vcc
	s_and_b32 s0, s14, 15
	v_mov_b32_e32 v5, s0
	v_cmp_lt_u64_e32 vcc, s[14:15], v[6:7]
	v_cndmask_b32_e32 v14, 16, v5, vcc
	v_mov_b32_e32 v15, v9
	v_bfe_u32 v18, v4, 2, 4
	v_mov_b32_e32 v19, v9
	v_cmp_lt_i64_e64 s[0:1], s[16:17], 1
	v_pk_mov_b32 v[34:35], 0, 0
	s_mov_b32 s9, 0
	v_and_b32_e32 v46, 63, v4
	v_and_b32_e32 v10, 3, v4
	v_mov_b32_e32 v11, v9
	s_mov_b64 s[56:57], 0
	s_and_b64 vcc, exec, s[0:1]
	v_cmp_lt_u64_e64 s[0:1], v[18:19], v[14:15]
	v_mbcnt_lo_u32_b32 v29, -1, 0
	v_pk_mov_b32 v[36:37], v[34:35], v[34:35] op_sel:[0,1]
	v_pk_mov_b32 v[20:21], v[34:35], v[34:35] op_sel:[0,1]
	;; [unrolled: 1-line block ×7, first 2 shown]
	s_cbranch_vccnz .LBB59_28
; %bb.2:
	s_load_dwordx2 s[12:13], s[4:5], 0x0
	s_load_dwordx8 s[44:51], s[4:5], 0x48
	s_load_dwordx4 s[52:55], s[4:5], 0x68
	v_mov_b32_e32 v5, 0
	v_and_b32_e32 v4, 15, v46
	s_waitcnt lgkmcnt(0)
	s_cmpk_lg_i32 s12, 0x6f
	s_cselect_b64 s[58:59], -1, 0
	s_cmpk_lg_i32 s13, 0x6f
	s_cselect_b64 s[60:61], -1, 0
	s_lshl_b64 s[2:3], s[8:9], 3
	s_add_u32 s2, s48, s2
	s_addc_u32 s3, s49, s3
	s_cmpk_eq_i32 s13, 0x6f
	s_cselect_b32 s9, s54, s52
	s_cselect_b32 s33, s55, s53
	s_cmpk_eq_i32 s12, 0x6f
	s_cselect_b32 s48, s26, s44
	s_cselect_b32 s49, s27, s45
	v_lshrrev_b32_e32 v28, 4, v46
	v_cmp_lt_u64_e64 s[4:5], v[4:5], v[8:9]
	v_cmp_lt_u64_e64 s[6:7], v[4:5], v[14:15]
	v_mul_lo_u32 v5, s49, v2
	v_mul_lo_u32 v6, s48, v3
	v_mad_u64_u32 v[2:3], s[48:49], s48, v2, 0
	v_add3_u32 v3, v3, v6, v5
	v_mad_u64_u32 v[6:7], s[48:49], s44, v28, 0
	v_mov_b32_e32 v20, v7
	v_mad_u64_u32 v[20:21], s[48:49], s45, v28, v[20:21]
	s_cmpk_eq_i32 s12, 0x71
	v_mov_b32_e32 v7, v20
	s_cselect_b64 s[10:11], -1, 0
	s_cmpk_eq_i32 s13, 0x71
	v_lshlrev_b64 v[2:3], 8, v[2:3]
	v_lshlrev_b64 v[6:7], 4, v[6:7]
	s_mul_i32 s47, s47, s8
	s_mul_hi_u32 s48, s46, s8
	s_cselect_b64 s[12:13], -1, 0
	v_add_co_u32_e32 v5, vcc, v2, v6
	s_add_i32 s47, s48, s47
	s_mul_i32 s46, s46, s8
	v_addc_co_u32_e32 v6, vcc, v3, v7, vcc
	s_lshl_b64 s[46:47], s[46:47], 4
	v_mov_b32_e32 v23, s47
	v_add_co_u32_e32 v5, vcc, s46, v5
	v_addc_co_u32_e32 v24, vcc, v6, v23, vcc
	v_mad_u64_u32 v[6:7], s[48:49], s26, v4, 0
	v_mov_b32_e32 v20, v7
	v_mad_u64_u32 v[20:21], s[48:49], s27, v4, v[20:21]
	v_mov_b32_e32 v7, v20
	v_lshlrev_b64 v[6:7], 4, v[6:7]
	s_lshl_b64 s[24:25], s[24:25], 4
	v_add_co_u32_e32 v5, vcc, v5, v6
	s_add_u32 s47, s22, s24
	v_addc_co_u32_e32 v6, vcc, v24, v7, vcc
	s_addc_u32 s48, s23, s25
	v_mov_b32_e32 v7, s48
	v_add_co_u32_e32 v5, vcc, s47, v5
	v_addc_co_u32_e32 v6, vcc, v7, v6, vcc
	v_add_co_u32_e32 v38, vcc, 8, v5
	v_addc_co_u32_e32 v39, vcc, 0, v6, vcc
	v_mul_lo_u32 v5, s33, v0
	v_mul_lo_u32 v6, s9, v1
	v_mad_u64_u32 v[0:1], s[24:25], s9, v0, 0
	v_add3_u32 v1, v1, v6, v5
	v_mad_u64_u32 v[6:7], s[24:25], s54, v28, 0
	v_mov_b32_e32 v20, v7
	v_mad_u64_u32 v[20:21], s[24:25], s55, v28, v[20:21]
	v_mov_b32_e32 v7, v20
	v_lshlrev_b64 v[0:1], 8, v[0:1]
	v_lshlrev_b64 v[6:7], 4, v[6:7]
	v_add_co_u32_e32 v21, vcc, v0, v6
	s_load_dwordx2 s[14:15], s[2:3], 0x0
	v_addc_co_u32_e32 v24, vcc, v1, v7, vcc
	v_mad_u64_u32 v[6:7], s[24:25], s52, v4, 0
	v_mov_b32_e32 v20, v7
	v_lshl_or_b32 v22, v4, 2, v28
	v_mad_u64_u32 v[4:5], s[24:25], s53, v4, v[20:21]
	v_mov_b32_e32 v7, v4
	s_lshl_b64 s[22:23], s[44:45], 6
	v_lshlrev_b64 v[4:5], 4, v[6:7]
	s_lshl_b64 s[24:25], s[50:51], 4
	v_add_co_u32_e32 v4, vcc, v21, v4
	s_waitcnt lgkmcnt(0)
	s_add_u32 s9, s14, s24
	v_addc_co_u32_e32 v5, vcc, v24, v5, vcc
	s_addc_u32 s33, s15, s25
	v_mov_b32_e32 v6, s33
	v_add_co_u32_e32 v4, vcc, s9, v4
	v_addc_co_u32_e32 v5, vcc, v6, v5, vcc
	v_add_co_u32_e32 v40, vcc, 8, v4
	v_addc_co_u32_e32 v41, vcc, 0, v5, vcc
	v_mad_u64_u32 v[4:5], s[14:15], s44, v18, 0
	v_mov_b32_e32 v6, v5
	v_mad_u64_u32 v[6:7], s[14:15], s45, v18, v[6:7]
	v_mov_b32_e32 v5, v6
	v_lshlrev_b64 v[4:5], 4, v[4:5]
	v_add_co_u32_e32 v2, vcc, v2, v4
	v_addc_co_u32_e32 v3, vcc, v3, v5, vcc
	v_add_co_u32_e32 v6, vcc, s46, v2
	v_addc_co_u32_e32 v7, vcc, v3, v23, vcc
	v_mad_u64_u32 v[2:3], s[14:15], s26, v10, 0
	v_mov_b32_e32 v4, v3
	v_mad_u64_u32 v[4:5], s[14:15], s27, v10, v[4:5]
	v_mov_b32_e32 v3, v4
	v_lshlrev_b64 v[2:3], 4, v[2:3]
	v_add_co_u32_e32 v2, vcc, v6, v2
	v_addc_co_u32_e32 v3, vcc, v7, v3, vcc
	v_mov_b32_e32 v4, s48
	v_add_co_u32_e32 v2, vcc, s47, v2
	v_addc_co_u32_e32 v3, vcc, v4, v3, vcc
	v_add_co_u32_e32 v42, vcc, 8, v2
	v_addc_co_u32_e32 v43, vcc, 0, v3, vcc
	v_mad_u64_u32 v[2:3], s[14:15], s54, v18, 0
	v_mov_b32_e32 v4, v3
	v_mad_u64_u32 v[4:5], s[14:15], s55, v18, v[4:5]
	v_mov_b32_e32 v3, v4
	v_lshlrev_b64 v[2:3], 4, v[2:3]
	v_add_co_u32_e32 v4, vcc, v0, v2
	v_addc_co_u32_e32 v5, vcc, v1, v3, vcc
	v_mad_u64_u32 v[0:1], s[14:15], s52, v10, 0
	v_mov_b32_e32 v2, v1
	v_mad_u64_u32 v[2:3], s[14:15], s53, v10, v[2:3]
	v_mov_b32_e32 v1, v2
	v_lshlrev_b64 v[0:1], 4, v[0:1]
	v_add_co_u32_e32 v0, vcc, v4, v0
	v_addc_co_u32_e32 v1, vcc, v5, v1, vcc
	v_mov_b32_e32 v2, s33
	v_add_co_u32_e32 v0, vcc, s9, v0
	v_addc_co_u32_e32 v1, vcc, v2, v1, vcc
	v_add_co_u32_e32 v44, vcc, 8, v0
	v_mbcnt_hi_u32_b32 v0, -1, v29
	v_pk_mov_b32 v[20:21], 0, 0
	v_and_or_b32 v0, v0, 64, v22
	v_cmp_lt_u64_e64 s[2:3], v[18:19], v[8:9]
	s_lshl_b64 s[24:25], s[54:55], 6
	s_lshl_b64 s[26:27], s[26:27], 6
	v_addc_co_u32_e32 v45, vcc, 0, v1, vcc
	s_lshl_b64 s[44:45], s[52:53], 6
	v_lshlrev_b32_e32 v47, 2, v0
	v_pk_mov_b32 v[24:25], v[20:21], v[20:21] op_sel:[0,1]
	v_pk_mov_b32 v[30:31], v[20:21], v[20:21] op_sel:[0,1]
	;; [unrolled: 1-line block ×7, first 2 shown]
	s_branch .LBB59_6
.LBB59_3:                               ;   in Loop: Header=BB59_6 Depth=1
	s_or_b64 exec, exec, s[46:47]
.LBB59_4:                               ;   in Loop: Header=BB59_6 Depth=1
	s_or_b64 exec, exec, s[14:15]
	s_waitcnt vmcnt(0)
	ds_bpermute_b32 v4, v47, v4
	ds_bpermute_b32 v5, v47, v5
	;; [unrolled: 1-line block ×4, first 2 shown]
.LBB59_5:                               ;   in Loop: Header=BB59_6 Depth=1
	s_waitcnt vmcnt(0) lgkmcnt(0)
	v_xor_b32_e32 v48, 0x80000000, v3
	v_cndmask_b32_e64 v3, v3, v48, s[10:11]
	v_cndmask_b32_e64 v2, v2, v2, s[10:11]
	v_xor_b32_e32 v48, 0x80000000, v7
	v_cndmask_b32_e64 v7, v7, v48, s[12:13]
	v_cndmask_b32_e64 v6, v6, v6, s[12:13]
	v_mfma_f64_16x16x4f64 v[48:55], v[0:1], v[4:5], 0
	s_add_u32 s56, s56, 4
	s_addc_u32 s57, s57, 0
	v_add_co_u32_e64 v38, s[14:15], s22, v38
	v_mfma_f64_16x16x4f64 v[56:63], v[2:3], v[6:7], 0
	s_nop 7
	s_nop 2
	v_add_f64 v[54:55], v[54:55], -v[62:63]
	v_pk_mov_b32 v[62:63], s[16:17], s[16:17] op_sel:[0,1]
	v_cmp_ge_i64_e32 vcc, s[56:57], v[62:63]
	v_mfma_f64_16x16x4f64 v[62:69], v[0:1], v[6:7], 0
	s_and_b64 vcc, exec, vcc
	v_add_f64 v[52:53], v[52:53], -v[60:61]
	v_add_f64 v[50:51], v[50:51], -v[58:59]
	;; [unrolled: 1-line block ×3, first 2 shown]
	v_add_f64 v[34:35], v[34:35], v[48:49]
	v_add_f64 v[32:33], v[32:33], v[50:51]
	;; [unrolled: 1-line block ×4, first 2 shown]
	v_mfma_f64_16x16x4f64 v[0:7], v[2:3], v[4:5], 0
	s_nop 7
	s_nop 2
	v_add_f64 v[0:1], v[62:63], v[0:1]
	v_add_f64 v[36:37], v[36:37], v[0:1]
	v_mov_b32_e32 v0, s23
	v_addc_co_u32_e64 v39, s[14:15], v39, v0, s[14:15]
	v_mov_b32_e32 v0, s25
	v_add_co_u32_e64 v40, s[14:15], s24, v40
	v_addc_co_u32_e64 v41, s[14:15], v41, v0, s[14:15]
	v_mov_b32_e32 v0, s27
	v_add_co_u32_e64 v42, s[14:15], s26, v42
	v_addc_co_u32_e64 v43, s[14:15], v43, v0, s[14:15]
	v_add_f64 v[6:7], v[68:69], v[6:7]
	v_add_f64 v[4:5], v[66:67], v[4:5]
	v_add_f64 v[2:3], v[64:65], v[2:3]
	v_mov_b32_e32 v0, s45
	v_add_co_u32_e64 v44, s[14:15], s44, v44
	v_add_f64 v[30:31], v[30:31], v[2:3]
	v_add_f64 v[24:25], v[24:25], v[4:5]
	;; [unrolled: 1-line block ×3, first 2 shown]
	v_addc_co_u32_e64 v45, s[14:15], v45, v0, s[14:15]
	s_cbranch_vccnz .LBB59_28
.LBB59_6:                               ; =>This Inner Loop Header: Depth=1
	s_and_b64 vcc, exec, s[58:59]
	s_cbranch_vccz .LBB59_18
; %bb.7:                                ;   in Loop: Header=BB59_6 Depth=1
	v_pk_mov_b32 v[0:1], 0, 0
	s_mov_b64 s[14:15], 0
	v_pk_mov_b32 v[2:3], v[0:1], v[0:1] op_sel:[0,1]
	s_and_saveexec_b64 s[46:47], s[2:3]
	s_cbranch_execz .LBB59_11
; %bb.8:                                ;   in Loop: Header=BB59_6 Depth=1
	v_mov_b32_e32 v1, s57
	v_add_co_u32_e32 v0, vcc, s56, v10
	v_addc_co_u32_e32 v1, vcc, 0, v1, vcc
	v_pk_mov_b32 v[2:3], 0, 0
	v_cmp_gt_i64_e32 vcc, s[16:17], v[0:1]
	v_pk_mov_b32 v[0:1], v[2:3], v[2:3] op_sel:[0,1]
	s_and_saveexec_b64 s[48:49], vcc
	s_cbranch_execz .LBB59_10
; %bb.9:                                ;   in Loop: Header=BB59_6 Depth=1
	global_load_dwordx4 v[0:3], v[42:43], off offset:-8
.LBB59_10:                              ;   in Loop: Header=BB59_6 Depth=1
	s_or_b64 exec, exec, s[48:49]
.LBB59_11:                              ;   in Loop: Header=BB59_6 Depth=1
	s_or_b64 exec, exec, s[46:47]
	s_waitcnt vmcnt(0)
	ds_bpermute_b32 v0, v47, v0
	ds_bpermute_b32 v1, v47, v1
	;; [unrolled: 1-line block ×4, first 2 shown]
	s_and_b64 vcc, exec, s[14:15]
	s_cbranch_vccnz .LBB59_19
.LBB59_12:                              ;   in Loop: Header=BB59_6 Depth=1
	s_and_b64 vcc, exec, s[60:61]
	s_cbranch_vccz .LBB59_24
.LBB59_13:                              ;   in Loop: Header=BB59_6 Depth=1
	v_pk_mov_b32 v[6:7], 0, 0
	s_mov_b64 s[14:15], 0
	v_pk_mov_b32 v[4:5], v[6:7], v[6:7] op_sel:[0,1]
	s_and_saveexec_b64 s[46:47], s[6:7]
	s_cbranch_execz .LBB59_17
; %bb.14:                               ;   in Loop: Header=BB59_6 Depth=1
	v_mov_b32_e32 v5, s57
	v_add_co_u32_e32 v4, vcc, s56, v28
	v_addc_co_u32_e32 v5, vcc, 0, v5, vcc
	v_pk_mov_b32 v[6:7], 0, 0
	v_cmp_gt_i64_e32 vcc, s[16:17], v[4:5]
	v_pk_mov_b32 v[4:5], v[6:7], v[6:7] op_sel:[0,1]
	s_and_saveexec_b64 s[48:49], vcc
	s_cbranch_execz .LBB59_16
; %bb.15:                               ;   in Loop: Header=BB59_6 Depth=1
	global_load_dwordx4 v[4:7], v[40:41], off offset:-8
.LBB59_16:                              ;   in Loop: Header=BB59_6 Depth=1
	s_or_b64 exec, exec, s[48:49]
.LBB59_17:                              ;   in Loop: Header=BB59_6 Depth=1
	s_or_b64 exec, exec, s[46:47]
	s_andn2_b64 vcc, exec, s[14:15]
	s_cbranch_vccnz .LBB59_5
	s_branch .LBB59_25
.LBB59_18:                              ;   in Loop: Header=BB59_6 Depth=1
                                        ; implicit-def: $vgpr2_vgpr3
	s_cbranch_execz .LBB59_12
.LBB59_19:                              ;   in Loop: Header=BB59_6 Depth=1
	s_waitcnt lgkmcnt(0)
	v_pk_mov_b32 v[2:3], 0, 0
	v_pk_mov_b32 v[0:1], v[2:3], v[2:3] op_sel:[0,1]
	s_and_saveexec_b64 s[14:15], s[4:5]
	s_cbranch_execz .LBB59_23
; %bb.20:                               ;   in Loop: Header=BB59_6 Depth=1
	v_mov_b32_e32 v1, s57
	v_add_co_u32_e32 v0, vcc, s56, v28
	v_addc_co_u32_e32 v1, vcc, 0, v1, vcc
	v_pk_mov_b32 v[2:3], 0, 0
	v_cmp_gt_i64_e32 vcc, s[16:17], v[0:1]
	v_pk_mov_b32 v[0:1], v[2:3], v[2:3] op_sel:[0,1]
	s_and_saveexec_b64 s[46:47], vcc
	s_cbranch_execz .LBB59_22
; %bb.21:                               ;   in Loop: Header=BB59_6 Depth=1
	global_load_dwordx4 v[0:3], v[38:39], off offset:-8
.LBB59_22:                              ;   in Loop: Header=BB59_6 Depth=1
	s_or_b64 exec, exec, s[46:47]
.LBB59_23:                              ;   in Loop: Header=BB59_6 Depth=1
	s_or_b64 exec, exec, s[14:15]
	s_and_b64 vcc, exec, s[60:61]
	s_cbranch_vccnz .LBB59_13
.LBB59_24:                              ;   in Loop: Header=BB59_6 Depth=1
                                        ; implicit-def: $vgpr6_vgpr7
.LBB59_25:                              ;   in Loop: Header=BB59_6 Depth=1
	s_waitcnt vmcnt(0)
	v_pk_mov_b32 v[4:5], 0, 0
	v_pk_mov_b32 v[6:7], v[4:5], v[4:5] op_sel:[0,1]
	s_and_saveexec_b64 s[14:15], s[0:1]
	s_cbranch_execz .LBB59_4
; %bb.26:                               ;   in Loop: Header=BB59_6 Depth=1
	v_mov_b32_e32 v5, s57
	v_add_co_u32_e32 v4, vcc, s56, v10
	v_addc_co_u32_e32 v5, vcc, 0, v5, vcc
	v_pk_mov_b32 v[6:7], 0, 0
	v_cmp_gt_i64_e32 vcc, s[16:17], v[4:5]
	v_pk_mov_b32 v[4:5], v[6:7], v[6:7] op_sel:[0,1]
	s_and_saveexec_b64 s[46:47], vcc
	s_cbranch_execz .LBB59_3
; %bb.27:                               ;   in Loop: Header=BB59_6 Depth=1
	global_load_dwordx4 v[4:7], v[44:45], off offset:-8
	s_branch .LBB59_3
.LBB59_28:
	s_waitcnt lgkmcnt(0)
	s_mul_i32 s0, s8, s35
	s_mul_hi_u32 s1, s8, s34
	s_add_i32 s1, s1, s0
	s_mul_i32 s0, s8, s34
	s_lshl_b64 s[0:1], s[0:1], 4
	s_add_u32 s2, s40, s0
	s_addc_u32 s3, s41, s1
	s_lshl_b64 s[0:1], s[42:43], 4
	s_add_u32 s2, s2, s0
	s_addc_u32 s3, s3, s1
	v_mul_lo_u32 v2, v17, s30
	v_mul_lo_u32 v3, v16, s31
	v_mad_u64_u32 v[0:1], s[0:1], v16, s30, 0
	v_add3_u32 v1, v1, v3, v2
	v_mul_lo_u32 v4, v13, s28
	v_mul_lo_u32 v5, v12, s29
	v_mad_u64_u32 v[2:3], s[0:1], v12, s28, 0
	v_lshlrev_b64 v[0:1], 4, v[0:1]
	v_add3_u32 v3, v3, v5, v4
	v_mov_b32_e32 v4, s3
	v_add_co_u32_e32 v5, vcc, s2, v0
	v_addc_co_u32_e32 v4, vcc, v4, v1, vcc
	v_lshlrev_b64 v[0:1], 4, v[2:3]
	v_add_co_u32_e32 v6, vcc, v5, v0
	v_lshl_or_b32 v0, v46, 4, v18
	v_addc_co_u32_e32 v7, vcc, v4, v1, vcc
	v_mbcnt_hi_u32_b32 v1, -1, v29
	v_and_b32_e32 v0, 63, v0
	v_and_or_b32 v0, v1, 64, v0
	v_lshlrev_b32_e32 v12, 2, v0
	v_mad_u64_u32 v[0:1], s[0:1], v18, s30, 0
	v_mov_b32_e32 v2, v1
	v_mad_u64_u32 v[2:3], s[0:1], v18, s31, v[2:3]
	v_mov_b32_e32 v1, v2
	v_lshlrev_b64 v[4:5], 4, v[0:1]
	ds_bpermute_b32 v0, v12, v34
	ds_bpermute_b32 v1, v12, v35
	;; [unrolled: 1-line block ×4, first 2 shown]
	v_add_co_u32_e64 v6, s[0:1], v6, v4
	v_addc_co_u32_e64 v7, s[0:1], v7, v5, s[0:1]
	v_cmp_lt_u64_e32 vcc, v[18:19], v[14:15]
	v_cmp_lt_u64_e64 s[0:1], v[10:11], v[8:9]
	s_and_b64 s[0:1], vcc, s[0:1]
	s_and_saveexec_b64 s[2:3], s[0:1]
	s_cbranch_execz .LBB59_30
; %bb.29:
	v_mad_u64_u32 v[4:5], s[0:1], v10, s28, 0
	v_mov_b32_e32 v14, v5
	v_mad_u64_u32 v[14:15], s[0:1], v10, s29, v[14:15]
	v_mov_b32_e32 v5, v14
	v_lshlrev_b64 v[4:5], 4, v[4:5]
	v_add_co_u32_e64 v4, s[0:1], v6, v4
	v_addc_co_u32_e64 v5, s[0:1], v7, v5, s[0:1]
	global_load_dwordx4 v[14:17], v[4:5], off
	s_waitcnt lgkmcnt(0)
	v_mul_f64 v[18:19], s[20:21], v[2:3]
	v_mul_f64 v[2:3], s[18:19], v[2:3]
	v_fma_f64 v[18:19], s[18:19], v[0:1], -v[18:19]
	v_fmac_f64_e32 v[2:3], s[20:21], v[0:1]
	s_waitcnt vmcnt(0)
	v_mul_f64 v[0:1], s[38:39], v[16:17]
	v_mul_f64 v[16:17], s[36:37], v[16:17]
	v_fma_f64 v[0:1], s[36:37], v[14:15], -v[0:1]
	v_fmac_f64_e32 v[16:17], s[38:39], v[14:15]
	v_add_f64 v[0:1], v[18:19], v[0:1]
	v_add_f64 v[2:3], v[2:3], v[16:17]
	global_store_dwordx4 v[4:5], v[0:3], off
.LBB59_30:
	s_or_b64 exec, exec, s[2:3]
	s_waitcnt lgkmcnt(3)
	ds_bpermute_b32 v0, v12, v32
	s_waitcnt lgkmcnt(3)
	ds_bpermute_b32 v1, v12, v33
	s_waitcnt lgkmcnt(3)
	ds_bpermute_b32 v2, v12, v30
	s_waitcnt lgkmcnt(3)
	ds_bpermute_b32 v3, v12, v31
	v_or_b32_e32 v4, 4, v10
	v_mov_b32_e32 v5, v11
	v_cmp_lt_u64_e64 s[0:1], v[4:5], v[8:9]
	s_and_b64 s[0:1], vcc, s[0:1]
	s_and_saveexec_b64 s[2:3], s[0:1]
	s_cbranch_execz .LBB59_32
; %bb.31:
	v_mad_u64_u32 v[14:15], s[0:1], v4, s28, 0
	v_mov_b32_e32 v16, v15
	v_mad_u64_u32 v[4:5], s[0:1], v4, s29, v[16:17]
	v_mov_b32_e32 v15, v4
	v_lshlrev_b64 v[4:5], 4, v[14:15]
	v_add_co_u32_e64 v4, s[0:1], v6, v4
	v_addc_co_u32_e64 v5, s[0:1], v7, v5, s[0:1]
	global_load_dwordx4 v[14:17], v[4:5], off
	s_waitcnt lgkmcnt(0)
	v_mul_f64 v[18:19], s[20:21], v[2:3]
	v_mul_f64 v[2:3], s[18:19], v[2:3]
	v_fma_f64 v[18:19], s[18:19], v[0:1], -v[18:19]
	v_fmac_f64_e32 v[2:3], s[20:21], v[0:1]
	s_waitcnt vmcnt(0)
	v_mul_f64 v[0:1], s[38:39], v[16:17]
	v_mul_f64 v[16:17], s[36:37], v[16:17]
	v_fma_f64 v[0:1], s[36:37], v[14:15], -v[0:1]
	v_fmac_f64_e32 v[16:17], s[38:39], v[14:15]
	v_add_f64 v[0:1], v[18:19], v[0:1]
	v_add_f64 v[2:3], v[2:3], v[16:17]
	global_store_dwordx4 v[4:5], v[0:3], off
.LBB59_32:
	s_or_b64 exec, exec, s[2:3]
	s_waitcnt lgkmcnt(3)
	ds_bpermute_b32 v0, v12, v26
	s_waitcnt lgkmcnt(3)
	ds_bpermute_b32 v1, v12, v27
	;; [unrolled: 2-line block ×4, first 2 shown]
	v_or_b32_e32 v4, 8, v10
	v_mov_b32_e32 v5, v11
	v_cmp_lt_u64_e64 s[0:1], v[4:5], v[8:9]
	s_and_b64 s[0:1], vcc, s[0:1]
	s_and_saveexec_b64 s[2:3], s[0:1]
	s_cbranch_execz .LBB59_34
; %bb.33:
	v_mad_u64_u32 v[14:15], s[0:1], v4, s28, 0
	v_mov_b32_e32 v16, v15
	v_mad_u64_u32 v[4:5], s[0:1], v4, s29, v[16:17]
	v_mov_b32_e32 v15, v4
	v_lshlrev_b64 v[4:5], 4, v[14:15]
	v_add_co_u32_e64 v4, s[0:1], v6, v4
	v_addc_co_u32_e64 v5, s[0:1], v7, v5, s[0:1]
	global_load_dwordx4 v[14:17], v[4:5], off
	s_waitcnt lgkmcnt(0)
	v_mul_f64 v[18:19], s[20:21], v[2:3]
	v_mul_f64 v[2:3], s[18:19], v[2:3]
	v_fma_f64 v[18:19], s[18:19], v[0:1], -v[18:19]
	v_fmac_f64_e32 v[2:3], s[20:21], v[0:1]
	s_waitcnt vmcnt(0)
	v_mul_f64 v[0:1], s[38:39], v[16:17]
	v_mul_f64 v[16:17], s[36:37], v[16:17]
	v_fma_f64 v[0:1], s[36:37], v[14:15], -v[0:1]
	v_fmac_f64_e32 v[16:17], s[38:39], v[14:15]
	v_add_f64 v[0:1], v[18:19], v[0:1]
	v_add_f64 v[2:3], v[2:3], v[16:17]
	global_store_dwordx4 v[4:5], v[0:3], off
.LBB59_34:
	s_or_b64 exec, exec, s[2:3]
	s_waitcnt lgkmcnt(3)
	ds_bpermute_b32 v0, v12, v22
	s_waitcnt lgkmcnt(3)
	ds_bpermute_b32 v1, v12, v23
	;; [unrolled: 2-line block ×4, first 2 shown]
	v_or_b32_e32 v10, 12, v10
	v_cmp_lt_u64_e64 s[0:1], v[10:11], v[8:9]
	s_and_b64 s[0:1], vcc, s[0:1]
	s_and_b64 exec, exec, s[0:1]
	s_cbranch_execz .LBB59_36
; %bb.35:
	v_mad_u64_u32 v[4:5], s[0:1], v10, s28, 0
	v_mov_b32_e32 v8, v5
	v_mad_u64_u32 v[8:9], s[0:1], v10, s29, v[8:9]
	v_mov_b32_e32 v5, v8
	v_lshlrev_b64 v[4:5], 4, v[4:5]
	v_add_co_u32_e32 v8, vcc, v6, v4
	v_addc_co_u32_e32 v9, vcc, v7, v5, vcc
	global_load_dwordx4 v[4:7], v[8:9], off
	s_waitcnt lgkmcnt(0)
	v_mul_f64 v[10:11], s[20:21], v[2:3]
	v_mul_f64 v[2:3], s[18:19], v[2:3]
	v_fma_f64 v[10:11], s[18:19], v[0:1], -v[10:11]
	v_fmac_f64_e32 v[2:3], s[20:21], v[0:1]
	s_waitcnt vmcnt(0)
	v_mul_f64 v[0:1], s[38:39], v[6:7]
	v_mul_f64 v[6:7], s[36:37], v[6:7]
	v_fma_f64 v[0:1], s[36:37], v[4:5], -v[0:1]
	v_fmac_f64_e32 v[6:7], s[38:39], v[4:5]
	v_add_f64 v[0:1], v[10:11], v[0:1]
	v_add_f64 v[2:3], v[2:3], v[6:7]
	global_store_dwordx4 v[8:9], v[0:3], off
.LBB59_36:
	s_endpgm
	.section	.rodata,"a",@progbits
	.p2align	6, 0x0
	.amdhsa_kernel _ZN9rocsolver6v33100L16mfma_gemm_kernelI19rocblas_complex_numIdElS3_PS3_PKS4_S4_EEv18rocblas_operation_S7_T0_S8_S8_T1_T2_lS8_S8_lT3_lS8_S8_lS9_T4_lS8_S8_l
		.amdhsa_group_segment_fixed_size 0
		.amdhsa_private_segment_fixed_size 0
		.amdhsa_kernarg_size 440
		.amdhsa_user_sgpr_count 6
		.amdhsa_user_sgpr_private_segment_buffer 1
		.amdhsa_user_sgpr_dispatch_ptr 0
		.amdhsa_user_sgpr_queue_ptr 0
		.amdhsa_user_sgpr_kernarg_segment_ptr 1
		.amdhsa_user_sgpr_dispatch_id 0
		.amdhsa_user_sgpr_flat_scratch_init 0
		.amdhsa_user_sgpr_kernarg_preload_length 0
		.amdhsa_user_sgpr_kernarg_preload_offset 0
		.amdhsa_user_sgpr_private_segment_size 0
		.amdhsa_uses_dynamic_stack 0
		.amdhsa_system_sgpr_private_segment_wavefront_offset 0
		.amdhsa_system_sgpr_workgroup_id_x 1
		.amdhsa_system_sgpr_workgroup_id_y 1
		.amdhsa_system_sgpr_workgroup_id_z 1
		.amdhsa_system_sgpr_workgroup_info 0
		.amdhsa_system_vgpr_workitem_id 1
		.amdhsa_next_free_vgpr 70
		.amdhsa_next_free_sgpr 62
		.amdhsa_accum_offset 72
		.amdhsa_reserve_vcc 1
		.amdhsa_reserve_flat_scratch 0
		.amdhsa_float_round_mode_32 0
		.amdhsa_float_round_mode_16_64 0
		.amdhsa_float_denorm_mode_32 3
		.amdhsa_float_denorm_mode_16_64 3
		.amdhsa_dx10_clamp 1
		.amdhsa_ieee_mode 1
		.amdhsa_fp16_overflow 0
		.amdhsa_tg_split 0
		.amdhsa_exception_fp_ieee_invalid_op 0
		.amdhsa_exception_fp_denorm_src 0
		.amdhsa_exception_fp_ieee_div_zero 0
		.amdhsa_exception_fp_ieee_overflow 0
		.amdhsa_exception_fp_ieee_underflow 0
		.amdhsa_exception_fp_ieee_inexact 0
		.amdhsa_exception_int_div_zero 0
	.end_amdhsa_kernel
	.section	.text._ZN9rocsolver6v33100L16mfma_gemm_kernelI19rocblas_complex_numIdElS3_PS3_PKS4_S4_EEv18rocblas_operation_S7_T0_S8_S8_T1_T2_lS8_S8_lT3_lS8_S8_lS9_T4_lS8_S8_l,"axG",@progbits,_ZN9rocsolver6v33100L16mfma_gemm_kernelI19rocblas_complex_numIdElS3_PS3_PKS4_S4_EEv18rocblas_operation_S7_T0_S8_S8_T1_T2_lS8_S8_lT3_lS8_S8_lS9_T4_lS8_S8_l,comdat
.Lfunc_end59:
	.size	_ZN9rocsolver6v33100L16mfma_gemm_kernelI19rocblas_complex_numIdElS3_PS3_PKS4_S4_EEv18rocblas_operation_S7_T0_S8_S8_T1_T2_lS8_S8_lT3_lS8_S8_lS9_T4_lS8_S8_l, .Lfunc_end59-_ZN9rocsolver6v33100L16mfma_gemm_kernelI19rocblas_complex_numIdElS3_PS3_PKS4_S4_EEv18rocblas_operation_S7_T0_S8_S8_T1_T2_lS8_S8_lT3_lS8_S8_lS9_T4_lS8_S8_l
                                        ; -- End function
	.section	.AMDGPU.csdata,"",@progbits
; Kernel info:
; codeLenInByte = 3012
; NumSgprs: 66
; NumVgprs: 70
; NumAgprs: 0
; TotalNumVgprs: 70
; ScratchSize: 0
; MemoryBound: 1
; FloatMode: 240
; IeeeMode: 1
; LDSByteSize: 0 bytes/workgroup (compile time only)
; SGPRBlocks: 8
; VGPRBlocks: 8
; NumSGPRsForWavesPerEU: 66
; NumVGPRsForWavesPerEU: 70
; AccumOffset: 72
; Occupancy: 7
; WaveLimiterHint : 1
; COMPUTE_PGM_RSRC2:SCRATCH_EN: 0
; COMPUTE_PGM_RSRC2:USER_SGPR: 6
; COMPUTE_PGM_RSRC2:TRAP_HANDLER: 0
; COMPUTE_PGM_RSRC2:TGID_X_EN: 1
; COMPUTE_PGM_RSRC2:TGID_Y_EN: 1
; COMPUTE_PGM_RSRC2:TGID_Z_EN: 1
; COMPUTE_PGM_RSRC2:TIDIG_COMP_CNT: 1
; COMPUTE_PGM_RSRC3_GFX90A:ACCUM_OFFSET: 17
; COMPUTE_PGM_RSRC3_GFX90A:TG_SPLIT: 0
	.section	.text._ZN9rocsolver6v33100L11gemm_kernelI19rocblas_complex_numIdElPKS3_PS3_PKS6_S6_EEvT0_S9_S9_T1_bT2_lS9_S9_lbT3_lS9_S9_lSA_T4_lS9_S9_l,"axG",@progbits,_ZN9rocsolver6v33100L11gemm_kernelI19rocblas_complex_numIdElPKS3_PS3_PKS6_S6_EEvT0_S9_S9_T1_bT2_lS9_S9_lbT3_lS9_S9_lSA_T4_lS9_S9_l,comdat
	.globl	_ZN9rocsolver6v33100L11gemm_kernelI19rocblas_complex_numIdElPKS3_PS3_PKS6_S6_EEvT0_S9_S9_T1_bT2_lS9_S9_lbT3_lS9_S9_lSA_T4_lS9_S9_l ; -- Begin function _ZN9rocsolver6v33100L11gemm_kernelI19rocblas_complex_numIdElPKS3_PS3_PKS6_S6_EEvT0_S9_S9_T1_bT2_lS9_S9_lbT3_lS9_S9_lSA_T4_lS9_S9_l
	.p2align	8
	.type	_ZN9rocsolver6v33100L11gemm_kernelI19rocblas_complex_numIdElPKS3_PS3_PKS6_S6_EEvT0_S9_S9_T1_bT2_lS9_S9_lbT3_lS9_S9_lSA_T4_lS9_S9_l,@function
_ZN9rocsolver6v33100L11gemm_kernelI19rocblas_complex_numIdElPKS3_PS3_PKS6_S6_EEvT0_S9_S9_T1_bT2_lS9_S9_lbT3_lS9_S9_lSA_T4_lS9_S9_l: ; @_ZN9rocsolver6v33100L11gemm_kernelI19rocblas_complex_numIdElPKS3_PS3_PKS6_S6_EEvT0_S9_S9_T1_bT2_lS9_S9_lbT3_lS9_S9_lSA_T4_lS9_S9_l
; %bb.0:
	s_load_dword s0, s[4:5], 0xbc
	s_load_dwordx8 s[16:23], s[4:5], 0x0
	v_and_b32_e32 v4, 0x3ff, v0
	v_mov_b32_e32 v5, 0
	v_mov_b32_e32 v1, s6
	s_waitcnt lgkmcnt(0)
	s_lshr_b32 s2, s0, 16
	s_and_b32 s0, s0, 0xffff
	v_mad_u64_u32 v[2:3], s[0:1], s0, v1, v[4:5]
	v_bfe_u32 v4, v0, 10, 10
	v_mov_b32_e32 v0, s7
	v_mad_u64_u32 v[0:1], s[0:1], s2, v0, v[4:5]
	v_cmp_gt_i64_e32 vcc, s[16:17], v[2:3]
	v_cmp_gt_i64_e64 s[0:1], s[18:19], v[0:1]
	s_mov_b32 s9, 0
	s_and_b64 s[0:1], vcc, s[0:1]
	s_and_saveexec_b64 s[2:3], s[0:1]
	s_cbranch_execz .LBB60_5
; %bb.1:
	s_load_dwordx8 s[12:19], s[4:5], 0x80
	s_load_dwordx4 s[44:47], s[4:5], 0xa0
	v_cmp_lt_i64_e64 s[0:1], s[20:21], 1
	v_pk_mov_b32 v[4:5], 0, 0
	s_and_b64 vcc, exec, s[0:1]
	v_pk_mov_b32 v[6:7], v[4:5], v[4:5] op_sel:[0,1]
	s_cbranch_vccnz .LBB60_4
; %bb.2:
	s_load_dword s10, s[4:5], 0x20
	s_load_dwordx8 s[24:31], s[4:5], 0x58
	s_load_dwordx8 s[36:43], s[4:5], 0x28
	s_load_dwordx2 s[2:3], s[4:5], 0x48
	s_load_dword s11, s[4:5], 0x50
	s_lshl_b64 s[0:1], s[8:9], 3
	s_waitcnt lgkmcnt(0)
	s_add_u32 s0, s24, s0
	s_addc_u32 s1, s25, s1
	s_bitcmp1_b32 s10, 0
	v_mad_u64_u32 v[4:5], s[4:5], s40, v2, 0
	s_cselect_b64 vcc, -1, 0
	s_bitcmp1_b32 s11, 0
	s_mul_i32 s3, s3, s8
	s_mul_hi_u32 s4, s2, s8
	s_load_dwordx2 s[6:7], s[0:1], 0x0
	s_cselect_b64 s[0:1], -1, 0
	s_add_i32 s3, s4, s3
	s_mul_i32 s2, s2, s8
	s_lshl_b64 s[2:3], s[2:3], 4
	s_lshl_b64 s[4:5], s[38:39], 4
	s_add_u32 s4, s36, s4
	v_mul_lo_u32 v6, s41, v2
	v_mul_lo_u32 v7, s40, v3
	s_addc_u32 s5, s37, s5
	v_add3_u32 v5, v5, v7, v6
	s_add_u32 s2, s4, s2
	v_lshlrev_b64 v[4:5], 4, v[4:5]
	s_addc_u32 s3, s5, s3
	v_mov_b32_e32 v6, s3
	v_add_co_u32_e64 v4, s[2:3], s2, v4
	v_addc_co_u32_e64 v5, s[2:3], v6, v5, s[2:3]
	v_add_co_u32_e64 v8, s[2:3], 8, v4
	v_addc_co_u32_e64 v9, s[2:3], 0, v5, s[2:3]
	v_mad_u64_u32 v[4:5], s[2:3], s30, v0, 0
	s_lshl_b64 s[4:5], s[42:43], 4
	v_mul_lo_u32 v6, s31, v0
	v_mul_lo_u32 v7, s30, v1
	s_lshl_b64 s[2:3], s[26:27], 4
	v_add3_u32 v5, v5, v7, v6
	s_waitcnt lgkmcnt(0)
	s_add_u32 s2, s6, s2
	v_lshlrev_b64 v[4:5], 4, v[4:5]
	s_addc_u32 s3, s7, s3
	v_mov_b32_e32 v6, s3
	v_add_co_u32_e64 v4, s[2:3], s2, v4
	v_addc_co_u32_e64 v5, s[2:3], v6, v5, s[2:3]
	v_add_co_u32_e64 v10, s[2:3], 8, v4
	v_addc_co_u32_e64 v11, s[2:3], 0, v5, s[2:3]
	s_lshl_b64 s[6:7], s[28:29], 4
	v_pk_mov_b32 v[4:5], 0, 0
	v_mov_b32_e32 v12, s5
	v_mov_b32_e32 v13, s7
	v_pk_mov_b32 v[6:7], v[4:5], v[4:5] op_sel:[0,1]
.LBB60_3:                               ; =>This Inner Loop Header: Depth=1
	global_load_dwordx4 v[14:17], v[8:9], off offset:-8
	global_load_dwordx4 v[18:21], v[10:11], off offset:-8
	v_add_co_u32_e64 v8, s[2:3], s4, v8
	s_add_u32 s20, s20, -1
	v_addc_co_u32_e64 v9, s[2:3], v9, v12, s[2:3]
	v_add_co_u32_e64 v10, s[2:3], s6, v10
	s_addc_u32 s21, s21, -1
	v_addc_co_u32_e64 v11, s[2:3], v11, v13, s[2:3]
	s_cmp_eq_u64 s[20:21], 0
	s_waitcnt vmcnt(1)
	v_xor_b32_e32 v22, 0x80000000, v17
	s_waitcnt vmcnt(0)
	v_xor_b32_e32 v23, 0x80000000, v21
	v_cndmask_b32_e32 v17, v17, v22, vcc
	v_cndmask_b32_e64 v21, v21, v23, s[0:1]
	v_mul_f64 v[22:23], v[16:17], v[20:21]
	v_mul_f64 v[16:17], v[16:17], v[18:19]
	v_fma_f64 v[18:19], v[14:15], v[18:19], -v[22:23]
	v_fmac_f64_e32 v[16:17], v[14:15], v[20:21]
	v_add_f64 v[6:7], v[6:7], v[18:19]
	v_add_f64 v[4:5], v[4:5], v[16:17]
	s_cbranch_scc0 .LBB60_3
.LBB60_4:
	s_waitcnt lgkmcnt(0)
	s_mul_i32 s9, s8, s47
	s_mul_hi_u32 s10, s8, s46
	s_add_i32 s9, s10, s9
	s_mul_i32 s8, s8, s46
	s_lshl_b64 s[8:9], s[8:9], 4
	s_add_u32 s10, s14, s8
	s_addc_u32 s11, s15, s9
	s_lshl_b64 s[8:9], s[16:17], 4
	s_add_u32 s10, s10, s8
	s_addc_u32 s11, s11, s9
	v_mul_lo_u32 v8, v3, s18
	v_mul_lo_u32 v9, v2, s19
	v_mad_u64_u32 v[2:3], s[8:9], v2, s18, 0
	v_add3_u32 v3, v3, v9, v8
	v_mul_lo_u32 v8, v1, s44
	v_mul_lo_u32 v9, v0, s45
	v_mad_u64_u32 v[0:1], s[8:9], v0, s44, 0
	v_lshlrev_b64 v[2:3], 4, v[2:3]
	v_add3_u32 v1, v1, v9, v8
	v_mov_b32_e32 v8, s11
	v_add_co_u32_e32 v2, vcc, s10, v2
	v_addc_co_u32_e32 v3, vcc, v8, v3, vcc
	v_lshlrev_b64 v[0:1], 4, v[0:1]
	v_add_co_u32_e32 v8, vcc, v2, v0
	v_addc_co_u32_e32 v9, vcc, v3, v1, vcc
	s_load_dwordx4 s[4:7], s[22:23], 0x0
	s_load_dwordx4 s[0:3], s[12:13], 0x0
	global_load_dwordx4 v[0:3], v[8:9], off
	s_waitcnt lgkmcnt(0)
	v_mul_f64 v[10:11], s[6:7], v[4:5]
	v_mul_f64 v[4:5], s[4:5], v[4:5]
	v_fma_f64 v[10:11], s[4:5], v[6:7], -v[10:11]
	v_fmac_f64_e32 v[4:5], s[6:7], v[6:7]
	s_waitcnt vmcnt(0)
	v_mul_f64 v[6:7], s[2:3], v[2:3]
	v_mul_f64 v[2:3], s[0:1], v[2:3]
	v_fma_f64 v[6:7], s[0:1], v[0:1], -v[6:7]
	v_fmac_f64_e32 v[2:3], s[2:3], v[0:1]
	v_add_f64 v[0:1], v[10:11], v[6:7]
	v_add_f64 v[2:3], v[4:5], v[2:3]
	global_store_dwordx4 v[8:9], v[0:3], off
.LBB60_5:
	s_endpgm
	.section	.rodata,"a",@progbits
	.p2align	6, 0x0
	.amdhsa_kernel _ZN9rocsolver6v33100L11gemm_kernelI19rocblas_complex_numIdElPKS3_PS3_PKS6_S6_EEvT0_S9_S9_T1_bT2_lS9_S9_lbT3_lS9_S9_lSA_T4_lS9_S9_l
		.amdhsa_group_segment_fixed_size 0
		.amdhsa_private_segment_fixed_size 0
		.amdhsa_kernarg_size 432
		.amdhsa_user_sgpr_count 6
		.amdhsa_user_sgpr_private_segment_buffer 1
		.amdhsa_user_sgpr_dispatch_ptr 0
		.amdhsa_user_sgpr_queue_ptr 0
		.amdhsa_user_sgpr_kernarg_segment_ptr 1
		.amdhsa_user_sgpr_dispatch_id 0
		.amdhsa_user_sgpr_flat_scratch_init 0
		.amdhsa_user_sgpr_kernarg_preload_length 0
		.amdhsa_user_sgpr_kernarg_preload_offset 0
		.amdhsa_user_sgpr_private_segment_size 0
		.amdhsa_uses_dynamic_stack 0
		.amdhsa_system_sgpr_private_segment_wavefront_offset 0
		.amdhsa_system_sgpr_workgroup_id_x 1
		.amdhsa_system_sgpr_workgroup_id_y 1
		.amdhsa_system_sgpr_workgroup_id_z 1
		.amdhsa_system_sgpr_workgroup_info 0
		.amdhsa_system_vgpr_workitem_id 1
		.amdhsa_next_free_vgpr 24
		.amdhsa_next_free_sgpr 48
		.amdhsa_accum_offset 24
		.amdhsa_reserve_vcc 1
		.amdhsa_reserve_flat_scratch 0
		.amdhsa_float_round_mode_32 0
		.amdhsa_float_round_mode_16_64 0
		.amdhsa_float_denorm_mode_32 3
		.amdhsa_float_denorm_mode_16_64 3
		.amdhsa_dx10_clamp 1
		.amdhsa_ieee_mode 1
		.amdhsa_fp16_overflow 0
		.amdhsa_tg_split 0
		.amdhsa_exception_fp_ieee_invalid_op 0
		.amdhsa_exception_fp_denorm_src 0
		.amdhsa_exception_fp_ieee_div_zero 0
		.amdhsa_exception_fp_ieee_overflow 0
		.amdhsa_exception_fp_ieee_underflow 0
		.amdhsa_exception_fp_ieee_inexact 0
		.amdhsa_exception_int_div_zero 0
	.end_amdhsa_kernel
	.section	.text._ZN9rocsolver6v33100L11gemm_kernelI19rocblas_complex_numIdElPKS3_PS3_PKS6_S6_EEvT0_S9_S9_T1_bT2_lS9_S9_lbT3_lS9_S9_lSA_T4_lS9_S9_l,"axG",@progbits,_ZN9rocsolver6v33100L11gemm_kernelI19rocblas_complex_numIdElPKS3_PS3_PKS6_S6_EEvT0_S9_S9_T1_bT2_lS9_S9_lbT3_lS9_S9_lSA_T4_lS9_S9_l,comdat
.Lfunc_end60:
	.size	_ZN9rocsolver6v33100L11gemm_kernelI19rocblas_complex_numIdElPKS3_PS3_PKS6_S6_EEvT0_S9_S9_T1_bT2_lS9_S9_lbT3_lS9_S9_lSA_T4_lS9_S9_l, .Lfunc_end60-_ZN9rocsolver6v33100L11gemm_kernelI19rocblas_complex_numIdElPKS3_PS3_PKS6_S6_EEvT0_S9_S9_T1_bT2_lS9_S9_lbT3_lS9_S9_lSA_T4_lS9_S9_l
                                        ; -- End function
	.section	.AMDGPU.csdata,"",@progbits
; Kernel info:
; codeLenInByte = 876
; NumSgprs: 52
; NumVgprs: 24
; NumAgprs: 0
; TotalNumVgprs: 24
; ScratchSize: 0
; MemoryBound: 0
; FloatMode: 240
; IeeeMode: 1
; LDSByteSize: 0 bytes/workgroup (compile time only)
; SGPRBlocks: 6
; VGPRBlocks: 2
; NumSGPRsForWavesPerEU: 52
; NumVGPRsForWavesPerEU: 24
; AccumOffset: 24
; Occupancy: 8
; WaveLimiterHint : 0
; COMPUTE_PGM_RSRC2:SCRATCH_EN: 0
; COMPUTE_PGM_RSRC2:USER_SGPR: 6
; COMPUTE_PGM_RSRC2:TRAP_HANDLER: 0
; COMPUTE_PGM_RSRC2:TGID_X_EN: 1
; COMPUTE_PGM_RSRC2:TGID_Y_EN: 1
; COMPUTE_PGM_RSRC2:TGID_Z_EN: 1
; COMPUTE_PGM_RSRC2:TIDIG_COMP_CNT: 1
; COMPUTE_PGM_RSRC3_GFX90A:ACCUM_OFFSET: 5
; COMPUTE_PGM_RSRC3_GFX90A:TG_SPLIT: 0
	.section	.text._ZN9rocsolver6v33100L11gemm_kernelI19rocblas_complex_numIdElS3_PS3_PKS4_S4_EEvT0_S7_S7_T1_bT2_lS7_S7_lbT3_lS7_S7_lS8_T4_lS7_S7_l,"axG",@progbits,_ZN9rocsolver6v33100L11gemm_kernelI19rocblas_complex_numIdElS3_PS3_PKS4_S4_EEvT0_S7_S7_T1_bT2_lS7_S7_lbT3_lS7_S7_lS8_T4_lS7_S7_l,comdat
	.globl	_ZN9rocsolver6v33100L11gemm_kernelI19rocblas_complex_numIdElS3_PS3_PKS4_S4_EEvT0_S7_S7_T1_bT2_lS7_S7_lbT3_lS7_S7_lS8_T4_lS7_S7_l ; -- Begin function _ZN9rocsolver6v33100L11gemm_kernelI19rocblas_complex_numIdElS3_PS3_PKS4_S4_EEvT0_S7_S7_T1_bT2_lS7_S7_lbT3_lS7_S7_lS8_T4_lS7_S7_l
	.p2align	8
	.type	_ZN9rocsolver6v33100L11gemm_kernelI19rocblas_complex_numIdElS3_PS3_PKS4_S4_EEvT0_S7_S7_T1_bT2_lS7_S7_lbT3_lS7_S7_lS8_T4_lS7_S7_l,@function
_ZN9rocsolver6v33100L11gemm_kernelI19rocblas_complex_numIdElS3_PS3_PKS4_S4_EEvT0_S7_S7_T1_bT2_lS7_S7_lbT3_lS7_S7_lS8_T4_lS7_S7_l: ; @_ZN9rocsolver6v33100L11gemm_kernelI19rocblas_complex_numIdElS3_PS3_PKS4_S4_EEvT0_S7_S7_T1_bT2_lS7_S7_lbT3_lS7_S7_lS8_T4_lS7_S7_l
; %bb.0:
	s_load_dword s0, s[4:5], 0xcc
	s_load_dwordx8 s[12:19], s[4:5], 0x0
	v_and_b32_e32 v4, 0x3ff, v0
	v_mov_b32_e32 v5, 0
	v_mov_b32_e32 v1, s6
	s_waitcnt lgkmcnt(0)
	s_lshr_b32 s2, s0, 16
	s_and_b32 s0, s0, 0xffff
	v_mad_u64_u32 v[2:3], s[0:1], s0, v1, v[4:5]
	v_bfe_u32 v4, v0, 10, 10
	v_mov_b32_e32 v0, s7
	v_mad_u64_u32 v[0:1], s[0:1], s2, v0, v[4:5]
	v_cmp_gt_i64_e32 vcc, s[12:13], v[2:3]
	v_cmp_gt_i64_e64 s[0:1], s[14:15], v[0:1]
	s_mov_b32 s9, 0
	s_and_b64 s[0:1], vcc, s[0:1]
	s_and_saveexec_b64 s[2:3], s[0:1]
	s_cbranch_execz .LBB61_5
; %bb.1:
	s_load_dwordx2 s[6:7], s[4:5], 0x20
	s_load_dwordx8 s[20:27], s[4:5], 0x88
	s_load_dwordx4 s[12:15], s[4:5], 0xa8
	s_load_dwordx2 s[10:11], s[4:5], 0xb8
	v_cmp_lt_i64_e64 s[0:1], s[16:17], 1
	v_pk_mov_b32 v[4:5], 0, 0
	s_and_b64 vcc, exec, s[0:1]
	v_pk_mov_b32 v[6:7], v[4:5], v[4:5] op_sel:[0,1]
	s_cbranch_vccnz .LBB61_4
; %bb.2:
	s_load_dword s30, s[4:5], 0x28
	s_load_dwordx8 s[36:43], s[4:5], 0x60
	s_load_dwordx8 s[44:51], s[4:5], 0x30
	s_load_dwordx2 s[2:3], s[4:5], 0x50
	s_load_dword s31, s[4:5], 0x58
	s_lshl_b64 s[0:1], s[8:9], 3
	s_waitcnt lgkmcnt(0)
	s_add_u32 s0, s36, s0
	s_addc_u32 s1, s37, s1
	s_bitcmp1_b32 s30, 0
	v_mad_u64_u32 v[4:5], s[4:5], s48, v2, 0
	s_cselect_b64 vcc, -1, 0
	s_bitcmp1_b32 s31, 0
	s_mul_i32 s3, s3, s8
	s_mul_hi_u32 s4, s2, s8
	s_load_dwordx2 s[28:29], s[0:1], 0x0
	s_cselect_b64 s[0:1], -1, 0
	s_add_i32 s3, s4, s3
	s_mul_i32 s2, s2, s8
	s_lshl_b64 s[2:3], s[2:3], 4
	s_lshl_b64 s[4:5], s[46:47], 4
	s_add_u32 s4, s44, s4
	v_mul_lo_u32 v6, s49, v2
	v_mul_lo_u32 v7, s48, v3
	s_addc_u32 s5, s45, s5
	v_add3_u32 v5, v5, v7, v6
	s_add_u32 s2, s4, s2
	v_lshlrev_b64 v[4:5], 4, v[4:5]
	s_addc_u32 s3, s5, s3
	v_mov_b32_e32 v6, s3
	v_add_co_u32_e64 v4, s[2:3], s2, v4
	v_addc_co_u32_e64 v5, s[2:3], v6, v5, s[2:3]
	v_add_co_u32_e64 v8, s[2:3], 8, v4
	v_addc_co_u32_e64 v9, s[2:3], 0, v5, s[2:3]
	v_mad_u64_u32 v[4:5], s[2:3], s42, v0, 0
	s_lshl_b64 s[4:5], s[50:51], 4
	v_mul_lo_u32 v6, s43, v0
	v_mul_lo_u32 v7, s42, v1
	s_lshl_b64 s[2:3], s[38:39], 4
	v_add3_u32 v5, v5, v7, v6
	s_waitcnt lgkmcnt(0)
	s_add_u32 s2, s28, s2
	v_lshlrev_b64 v[4:5], 4, v[4:5]
	s_addc_u32 s3, s29, s3
	v_mov_b32_e32 v6, s3
	v_add_co_u32_e64 v4, s[2:3], s2, v4
	v_addc_co_u32_e64 v5, s[2:3], v6, v5, s[2:3]
	v_add_co_u32_e64 v10, s[2:3], 8, v4
	v_addc_co_u32_e64 v11, s[2:3], 0, v5, s[2:3]
	s_lshl_b64 s[28:29], s[40:41], 4
	v_pk_mov_b32 v[4:5], 0, 0
	v_mov_b32_e32 v12, s5
	v_mov_b32_e32 v13, s29
	v_pk_mov_b32 v[6:7], v[4:5], v[4:5] op_sel:[0,1]
.LBB61_3:                               ; =>This Inner Loop Header: Depth=1
	global_load_dwordx4 v[14:17], v[8:9], off offset:-8
	global_load_dwordx4 v[18:21], v[10:11], off offset:-8
	v_add_co_u32_e64 v8, s[2:3], s4, v8
	s_add_u32 s16, s16, -1
	v_addc_co_u32_e64 v9, s[2:3], v9, v12, s[2:3]
	v_add_co_u32_e64 v10, s[2:3], s28, v10
	s_addc_u32 s17, s17, -1
	v_addc_co_u32_e64 v11, s[2:3], v11, v13, s[2:3]
	s_cmp_eq_u64 s[16:17], 0
	s_waitcnt vmcnt(1)
	v_xor_b32_e32 v22, 0x80000000, v17
	s_waitcnt vmcnt(0)
	v_xor_b32_e32 v23, 0x80000000, v21
	v_cndmask_b32_e32 v17, v17, v22, vcc
	v_cndmask_b32_e64 v21, v21, v23, s[0:1]
	v_mul_f64 v[22:23], v[16:17], v[20:21]
	v_mul_f64 v[16:17], v[16:17], v[18:19]
	v_fma_f64 v[18:19], v[14:15], v[18:19], -v[22:23]
	v_fmac_f64_e32 v[16:17], v[14:15], v[20:21]
	v_add_f64 v[6:7], v[6:7], v[18:19]
	v_add_f64 v[4:5], v[4:5], v[16:17]
	s_cbranch_scc0 .LBB61_3
.LBB61_4:
	s_waitcnt lgkmcnt(0)
	s_mul_i32 s0, s8, s11
	s_mul_hi_u32 s1, s8, s10
	s_add_i32 s1, s1, s0
	s_mul_i32 s0, s8, s10
	s_lshl_b64 s[0:1], s[0:1], 4
	s_add_u32 s2, s24, s0
	s_addc_u32 s3, s25, s1
	s_lshl_b64 s[0:1], s[26:27], 4
	s_add_u32 s2, s2, s0
	s_addc_u32 s3, s3, s1
	v_mul_lo_u32 v8, v3, s12
	v_mul_lo_u32 v9, v2, s13
	v_mad_u64_u32 v[2:3], s[0:1], v2, s12, 0
	v_add3_u32 v3, v3, v9, v8
	v_mul_lo_u32 v8, v1, s14
	v_mul_lo_u32 v9, v0, s15
	v_mad_u64_u32 v[0:1], s[0:1], v0, s14, 0
	v_lshlrev_b64 v[2:3], 4, v[2:3]
	v_add3_u32 v1, v1, v9, v8
	v_mov_b32_e32 v8, s3
	v_add_co_u32_e32 v2, vcc, s2, v2
	v_addc_co_u32_e32 v3, vcc, v8, v3, vcc
	v_lshlrev_b64 v[0:1], 4, v[0:1]
	v_add_co_u32_e32 v8, vcc, v2, v0
	v_addc_co_u32_e32 v9, vcc, v3, v1, vcc
	global_load_dwordx4 v[0:3], v[8:9], off
	v_mul_f64 v[10:11], s[6:7], v[4:5]
	v_mul_f64 v[4:5], s[18:19], v[4:5]
	v_fma_f64 v[10:11], s[18:19], v[6:7], -v[10:11]
	v_fmac_f64_e32 v[4:5], s[6:7], v[6:7]
	s_waitcnt vmcnt(0)
	v_mul_f64 v[6:7], s[22:23], v[2:3]
	v_mul_f64 v[2:3], s[20:21], v[2:3]
	v_fma_f64 v[6:7], s[20:21], v[0:1], -v[6:7]
	v_fmac_f64_e32 v[2:3], s[22:23], v[0:1]
	v_add_f64 v[0:1], v[10:11], v[6:7]
	v_add_f64 v[2:3], v[4:5], v[2:3]
	global_store_dwordx4 v[8:9], v[0:3], off
.LBB61_5:
	s_endpgm
	.section	.rodata,"a",@progbits
	.p2align	6, 0x0
	.amdhsa_kernel _ZN9rocsolver6v33100L11gemm_kernelI19rocblas_complex_numIdElS3_PS3_PKS4_S4_EEvT0_S7_S7_T1_bT2_lS7_S7_lbT3_lS7_S7_lS8_T4_lS7_S7_l
		.amdhsa_group_segment_fixed_size 0
		.amdhsa_private_segment_fixed_size 0
		.amdhsa_kernarg_size 448
		.amdhsa_user_sgpr_count 6
		.amdhsa_user_sgpr_private_segment_buffer 1
		.amdhsa_user_sgpr_dispatch_ptr 0
		.amdhsa_user_sgpr_queue_ptr 0
		.amdhsa_user_sgpr_kernarg_segment_ptr 1
		.amdhsa_user_sgpr_dispatch_id 0
		.amdhsa_user_sgpr_flat_scratch_init 0
		.amdhsa_user_sgpr_kernarg_preload_length 0
		.amdhsa_user_sgpr_kernarg_preload_offset 0
		.amdhsa_user_sgpr_private_segment_size 0
		.amdhsa_uses_dynamic_stack 0
		.amdhsa_system_sgpr_private_segment_wavefront_offset 0
		.amdhsa_system_sgpr_workgroup_id_x 1
		.amdhsa_system_sgpr_workgroup_id_y 1
		.amdhsa_system_sgpr_workgroup_id_z 1
		.amdhsa_system_sgpr_workgroup_info 0
		.amdhsa_system_vgpr_workitem_id 1
		.amdhsa_next_free_vgpr 24
		.amdhsa_next_free_sgpr 52
		.amdhsa_accum_offset 24
		.amdhsa_reserve_vcc 1
		.amdhsa_reserve_flat_scratch 0
		.amdhsa_float_round_mode_32 0
		.amdhsa_float_round_mode_16_64 0
		.amdhsa_float_denorm_mode_32 3
		.amdhsa_float_denorm_mode_16_64 3
		.amdhsa_dx10_clamp 1
		.amdhsa_ieee_mode 1
		.amdhsa_fp16_overflow 0
		.amdhsa_tg_split 0
		.amdhsa_exception_fp_ieee_invalid_op 0
		.amdhsa_exception_fp_denorm_src 0
		.amdhsa_exception_fp_ieee_div_zero 0
		.amdhsa_exception_fp_ieee_overflow 0
		.amdhsa_exception_fp_ieee_underflow 0
		.amdhsa_exception_fp_ieee_inexact 0
		.amdhsa_exception_int_div_zero 0
	.end_amdhsa_kernel
	.section	.text._ZN9rocsolver6v33100L11gemm_kernelI19rocblas_complex_numIdElS3_PS3_PKS4_S4_EEvT0_S7_S7_T1_bT2_lS7_S7_lbT3_lS7_S7_lS8_T4_lS7_S7_l,"axG",@progbits,_ZN9rocsolver6v33100L11gemm_kernelI19rocblas_complex_numIdElS3_PS3_PKS4_S4_EEvT0_S7_S7_T1_bT2_lS7_S7_lbT3_lS7_S7_lS8_T4_lS7_S7_l,comdat
.Lfunc_end61:
	.size	_ZN9rocsolver6v33100L11gemm_kernelI19rocblas_complex_numIdElS3_PS3_PKS4_S4_EEvT0_S7_S7_T1_bT2_lS7_S7_lbT3_lS7_S7_lS8_T4_lS7_S7_l, .Lfunc_end61-_ZN9rocsolver6v33100L11gemm_kernelI19rocblas_complex_numIdElS3_PS3_PKS4_S4_EEvT0_S7_S7_T1_bT2_lS7_S7_lbT3_lS7_S7_lS8_T4_lS7_S7_l
                                        ; -- End function
	.section	.AMDGPU.csdata,"",@progbits
; Kernel info:
; codeLenInByte = 872
; NumSgprs: 56
; NumVgprs: 24
; NumAgprs: 0
; TotalNumVgprs: 24
; ScratchSize: 0
; MemoryBound: 0
; FloatMode: 240
; IeeeMode: 1
; LDSByteSize: 0 bytes/workgroup (compile time only)
; SGPRBlocks: 6
; VGPRBlocks: 2
; NumSGPRsForWavesPerEU: 56
; NumVGPRsForWavesPerEU: 24
; AccumOffset: 24
; Occupancy: 8
; WaveLimiterHint : 0
; COMPUTE_PGM_RSRC2:SCRATCH_EN: 0
; COMPUTE_PGM_RSRC2:USER_SGPR: 6
; COMPUTE_PGM_RSRC2:TRAP_HANDLER: 0
; COMPUTE_PGM_RSRC2:TGID_X_EN: 1
; COMPUTE_PGM_RSRC2:TGID_Y_EN: 1
; COMPUTE_PGM_RSRC2:TGID_Z_EN: 1
; COMPUTE_PGM_RSRC2:TIDIG_COMP_CNT: 1
; COMPUTE_PGM_RSRC3_GFX90A:ACCUM_OFFSET: 5
; COMPUTE_PGM_RSRC3_GFX90A:TG_SPLIT: 0
	.section	.text._ZN9rocsolver6v33100L16mfma_gemm_kernelI19rocblas_complex_numIdElPKS3_PS3_S6_PKS6_EEv18rocblas_operation_S9_T0_SA_SA_T1_T2_lSA_SA_lT3_lSA_SA_lSB_T4_lSA_SA_l,"axG",@progbits,_ZN9rocsolver6v33100L16mfma_gemm_kernelI19rocblas_complex_numIdElPKS3_PS3_S6_PKS6_EEv18rocblas_operation_S9_T0_SA_SA_T1_T2_lSA_SA_lT3_lSA_SA_lSB_T4_lSA_SA_l,comdat
	.globl	_ZN9rocsolver6v33100L16mfma_gemm_kernelI19rocblas_complex_numIdElPKS3_PS3_S6_PKS6_EEv18rocblas_operation_S9_T0_SA_SA_T1_T2_lSA_SA_lT3_lSA_SA_lSB_T4_lSA_SA_l ; -- Begin function _ZN9rocsolver6v33100L16mfma_gemm_kernelI19rocblas_complex_numIdElPKS3_PS3_S6_PKS6_EEv18rocblas_operation_S9_T0_SA_SA_T1_T2_lSA_SA_lT3_lSA_SA_lSB_T4_lSA_SA_l
	.p2align	8
	.type	_ZN9rocsolver6v33100L16mfma_gemm_kernelI19rocblas_complex_numIdElPKS3_PS3_S6_PKS6_EEv18rocblas_operation_S9_T0_SA_SA_T1_T2_lSA_SA_lT3_lSA_SA_lSB_T4_lSA_SA_l,@function
_ZN9rocsolver6v33100L16mfma_gemm_kernelI19rocblas_complex_numIdElPKS3_PS3_S6_PKS6_EEv18rocblas_operation_S9_T0_SA_SA_T1_T2_lSA_SA_lT3_lSA_SA_lSB_T4_lSA_SA_l: ; @_ZN9rocsolver6v33100L16mfma_gemm_kernelI19rocblas_complex_numIdElPKS3_PS3_S6_PKS6_EEv18rocblas_operation_S9_T0_SA_SA_T1_T2_lSA_SA_lT3_lSA_SA_lSB_T4_lSA_SA_l
; %bb.0:
	s_load_dword s0, s[4:5], 0xb4
	s_load_dwordx16 s[12:27], s[4:5], 0x8
	v_and_b32_e32 v4, 0x3ff, v0
	v_mov_b32_e32 v9, 0
	v_lshrrev_b32_e32 v8, 6, v4
	s_waitcnt lgkmcnt(0)
	s_lshr_b32 s2, s0, 16
	s_bfe_u32 s0, s0, 0xa0006
	v_bfe_u32 v0, v0, 10, 10
	v_mov_b32_e32 v1, v9
	v_mov_b32_e32 v2, s6
	;; [unrolled: 1-line block ×3, first 2 shown]
	v_mad_u64_u32 v[2:3], s[0:1], s0, v2, v[8:9]
	v_mad_u64_u32 v[0:1], s[0:1], s2, v5, v[0:1]
	v_lshlrev_b64 v[12:13], 4, v[2:3]
	v_lshlrev_b64 v[14:15], 4, v[0:1]
	v_cmp_gt_i64_e32 vcc, s[12:13], v[12:13]
	v_cmp_gt_i64_e64 s[0:1], s[14:15], v[14:15]
	s_and_b64 s[0:1], vcc, s[0:1]
	s_and_saveexec_b64 s[2:3], s[0:1]
	s_cbranch_execz .LBB62_36
; %bb.1:
	s_load_dwordx16 s[36:51], s[4:5], 0x48
	v_add_co_u32_e32 v6, vcc, 16, v12
	v_addc_co_u32_e32 v7, vcc, 0, v13, vcc
	s_and_b32 s0, s12, 15
	v_mov_b32_e32 v5, s0
	v_cmp_lt_u64_e32 vcc, s[12:13], v[6:7]
	s_mov_b32 s9, 0
	s_and_b32 s0, s14, 15
	v_cndmask_b32_e32 v8, 16, v5, vcc
	v_mov_b32_e32 v5, s0
	s_lshl_b64 s[0:1], s[8:9], 3
	s_waitcnt lgkmcnt(0)
	s_add_u32 s0, s50, s0
	s_addc_u32 s1, s51, s1
	v_add_co_u32_e32 v6, vcc, 16, v14
	s_load_dwordx4 s[52:55], s[18:19], 0x0
	s_load_dwordx4 s[28:31], s[48:49], 0x0
	v_addc_co_u32_e32 v7, vcc, 0, v15, vcc
	s_load_dwordx2 s[18:19], s[0:1], 0x0
	v_cmp_lt_u64_e32 vcc, s[14:15], v[6:7]
	v_cndmask_b32_e32 v16, 16, v5, vcc
	v_mov_b32_e32 v17, v9
	v_bfe_u32 v18, v4, 2, 4
	v_mov_b32_e32 v19, v9
	v_cmp_lt_i64_e64 s[0:1], s[16:17], 1
	v_pk_mov_b32 v[36:37], 0, 0
	v_and_b32_e32 v43, 63, v4
	v_and_b32_e32 v10, 3, v4
	v_mov_b32_e32 v11, v9
	s_mov_b64 s[34:35], 0
	s_and_b64 vcc, exec, s[0:1]
	v_cmp_lt_u64_e64 s[0:1], v[18:19], v[16:17]
	v_mbcnt_lo_u32_b32 v46, -1, 0
	v_pk_mov_b32 v[38:39], v[36:37], v[36:37] op_sel:[0,1]
	v_pk_mov_b32 v[20:21], v[36:37], v[36:37] op_sel:[0,1]
	;; [unrolled: 1-line block ×7, first 2 shown]
	s_cbranch_vccnz .LBB62_28
; %bb.2:
	s_load_dwordx2 s[12:13], s[4:5], 0x0
	v_mov_b32_e32 v5, 0
	v_and_b32_e32 v4, 15, v43
	v_lshrrev_b32_e32 v28, 4, v43
	v_cmp_lt_u64_e64 s[6:7], v[4:5], v[8:9]
	s_waitcnt lgkmcnt(0)
	s_cmpk_lg_i32 s12, 0x6f
	s_cselect_b64 s[48:49], -1, 0
	s_cmpk_lg_i32 s13, 0x6f
	s_cselect_b64 s[50:51], -1, 0
	s_cmpk_eq_i32 s13, 0x6f
	s_cselect_b32 s9, s44, s42
	s_cselect_b32 s33, s45, s43
	s_cmpk_eq_i32 s12, 0x6f
	s_cselect_b32 s56, s24, s26
	s_cselect_b32 s57, s25, s27
	v_cmp_lt_u64_e64 s[14:15], v[4:5], v[16:17]
	v_mul_lo_u32 v5, s57, v2
	v_mul_lo_u32 v6, s56, v3
	v_mad_u64_u32 v[2:3], s[56:57], s56, v2, 0
	v_add3_u32 v3, v3, v6, v5
	v_mad_u64_u32 v[6:7], s[56:57], s26, v28, 0
	v_mov_b32_e32 v20, v7
	v_mad_u64_u32 v[20:21], s[56:57], s27, v28, v[20:21]
	s_cmpk_eq_i32 s12, 0x71
	v_mov_b32_e32 v7, v20
	s_cselect_b64 s[10:11], -1, 0
	s_cmpk_eq_i32 s13, 0x71
	v_lshlrev_b64 v[2:3], 8, v[2:3]
	v_lshlrev_b64 v[6:7], 4, v[6:7]
	s_mul_i32 s37, s37, s8
	s_mul_hi_u32 s56, s36, s8
	s_cselect_b64 s[12:13], -1, 0
	v_add_co_u32_e32 v5, vcc, v2, v6
	s_add_i32 s37, s56, s37
	s_mul_i32 s36, s36, s8
	v_addc_co_u32_e32 v6, vcc, v3, v7, vcc
	s_lshl_b64 s[56:57], s[36:37], 4
	v_mov_b32_e32 v23, s57
	v_add_co_u32_e32 v5, vcc, s56, v5
	v_addc_co_u32_e32 v24, vcc, v6, v23, vcc
	v_mad_u64_u32 v[6:7], s[36:37], s24, v4, 0
	v_mov_b32_e32 v20, v7
	v_mad_u64_u32 v[20:21], s[36:37], s25, v4, v[20:21]
	v_mov_b32_e32 v7, v20
	v_lshlrev_b64 v[6:7], 4, v[6:7]
	v_add_co_u32_e32 v5, vcc, v5, v6
	v_addc_co_u32_e32 v6, vcc, v24, v7, vcc
	v_mov_b32_e32 v7, s21
	v_add_co_u32_e32 v5, vcc, s20, v5
	v_addc_co_u32_e32 v6, vcc, v6, v7, vcc
	v_add_co_u32_e32 v34, vcc, 8, v5
	v_addc_co_u32_e32 v29, vcc, 0, v6, vcc
	v_mul_lo_u32 v5, s33, v0
	v_mul_lo_u32 v6, s9, v1
	v_mad_u64_u32 v[0:1], s[58:59], s9, v0, 0
	v_add3_u32 v1, v1, v6, v5
	v_mad_u64_u32 v[6:7], s[58:59], s44, v28, 0
	v_mov_b32_e32 v20, v7
	v_mad_u64_u32 v[20:21], s[58:59], s45, v28, v[20:21]
	v_mov_b32_e32 v7, v20
	v_lshlrev_b64 v[0:1], 8, v[0:1]
	v_lshlrev_b64 v[6:7], 4, v[6:7]
	s_mul_i32 s9, s47, s8
	s_mul_hi_u32 s33, s46, s8
	v_add_co_u32_e32 v5, vcc, v0, v6
	s_add_i32 s9, s33, s9
	s_mul_i32 s8, s46, s8
	v_addc_co_u32_e32 v6, vcc, v1, v7, vcc
	s_lshl_b64 s[8:9], s[8:9], 4
	v_mov_b32_e32 v21, s9
	v_add_co_u32_e32 v24, vcc, s8, v5
	v_addc_co_u32_e32 v25, vcc, v6, v21, vcc
	v_mad_u64_u32 v[6:7], s[46:47], s42, v4, 0
	v_mov_b32_e32 v20, v7
	v_lshl_or_b32 v22, v4, 2, v28
	v_mad_u64_u32 v[4:5], s[46:47], s43, v4, v[20:21]
	v_mov_b32_e32 v7, v4
	s_lshl_b64 s[22:23], s[22:23], 4
	s_lshl_b64 s[36:37], s[26:27], 6
	v_lshlrev_b64 v[4:5], 4, v[6:7]
	s_lshl_b64 s[40:41], s[40:41], 4
	v_add_co_u32_e32 v4, vcc, v24, v4
	s_add_u32 s33, s38, s40
	v_addc_co_u32_e32 v5, vcc, v25, v5, vcc
	s_addc_u32 s46, s39, s41
	v_mov_b32_e32 v6, s46
	v_add_co_u32_e32 v4, vcc, s33, v4
	v_addc_co_u32_e32 v5, vcc, v6, v5, vcc
	v_add_co_u32_e32 v40, vcc, 8, v4
	v_addc_co_u32_e32 v41, vcc, 0, v5, vcc
	v_mad_u64_u32 v[4:5], s[40:41], s26, v18, 0
	v_mov_b32_e32 v6, v5
	v_mad_u64_u32 v[6:7], s[26:27], s27, v18, v[6:7]
	v_mov_b32_e32 v5, v6
	v_lshlrev_b64 v[4:5], 4, v[4:5]
	v_add_co_u32_e32 v2, vcc, v2, v4
	v_addc_co_u32_e32 v3, vcc, v3, v5, vcc
	v_add_co_u32_e32 v6, vcc, s56, v2
	v_addc_co_u32_e32 v7, vcc, v3, v23, vcc
	v_mad_u64_u32 v[2:3], s[26:27], s24, v10, 0
	v_mov_b32_e32 v4, v3
	v_mad_u64_u32 v[4:5], s[26:27], s25, v10, v[4:5]
	v_mov_b32_e32 v3, v4
	v_lshlrev_b64 v[2:3], 4, v[2:3]
	v_add_co_u32_e32 v2, vcc, v6, v2
	v_addc_co_u32_e32 v3, vcc, v7, v3, vcc
	v_mov_b32_e32 v4, s21
	v_add_co_u32_e32 v2, vcc, s20, v2
	v_addc_co_u32_e32 v3, vcc, v3, v4, vcc
	v_add_co_u32_e32 v42, vcc, 8, v2
	v_addc_co_u32_e32 v35, vcc, 0, v3, vcc
	s_lshl_b64 s[20:21], s[24:25], 6
	v_mad_u64_u32 v[2:3], s[24:25], s44, v18, 0
	v_mov_b32_e32 v4, v3
	v_mad_u64_u32 v[4:5], s[24:25], s45, v18, v[4:5]
	v_mov_b32_e32 v3, v4
	v_lshlrev_b64 v[2:3], 4, v[2:3]
	v_add_co_u32_e32 v0, vcc, v0, v2
	v_addc_co_u32_e32 v1, vcc, v1, v3, vcc
	v_add_co_u32_e32 v4, vcc, s8, v0
	v_addc_co_u32_e32 v5, vcc, v1, v21, vcc
	v_mad_u64_u32 v[0:1], s[8:9], s42, v10, 0
	v_mov_b32_e32 v2, v1
	v_mad_u64_u32 v[2:3], s[8:9], s43, v10, v[2:3]
	v_mov_b32_e32 v1, v2
	v_lshlrev_b64 v[0:1], 4, v[0:1]
	v_add_co_u32_e32 v0, vcc, v4, v0
	v_addc_co_u32_e32 v1, vcc, v5, v1, vcc
	v_mov_b32_e32 v2, s46
	v_add_co_u32_e32 v0, vcc, s33, v0
	v_addc_co_u32_e32 v1, vcc, v2, v1, vcc
	v_add_co_u32_e32 v44, vcc, 8, v0
	v_mbcnt_hi_u32_b32 v0, -1, v46
	v_pk_mov_b32 v[20:21], 0, 0
	v_and_or_b32 v0, v0, 64, v22
	v_cmp_lt_u64_e64 s[2:3], v[18:19], v[8:9]
	s_lshl_b64 s[38:39], s[44:45], 6
	v_addc_co_u32_e32 v45, vcc, 0, v1, vcc
	s_lshl_b64 s[24:25], s[42:43], 6
	v_lshlrev_b32_e32 v47, 2, v0
	v_pk_mov_b32 v[24:25], v[20:21], v[20:21] op_sel:[0,1]
	v_pk_mov_b32 v[30:31], v[20:21], v[20:21] op_sel:[0,1]
	;; [unrolled: 1-line block ×7, first 2 shown]
	s_branch .LBB62_6
.LBB62_3:                               ;   in Loop: Header=BB62_6 Depth=1
	s_or_b64 exec, exec, s[26:27]
.LBB62_4:                               ;   in Loop: Header=BB62_6 Depth=1
	s_or_b64 exec, exec, s[8:9]
	s_waitcnt vmcnt(0)
	ds_bpermute_b32 v4, v47, v4
	ds_bpermute_b32 v5, v47, v5
	;; [unrolled: 1-line block ×4, first 2 shown]
.LBB62_5:                               ;   in Loop: Header=BB62_6 Depth=1
	s_waitcnt vmcnt(0) lgkmcnt(0)
	v_xor_b32_e32 v48, 0x80000000, v3
	v_cndmask_b32_e64 v3, v3, v48, s[10:11]
	v_cndmask_b32_e64 v2, v2, v2, s[10:11]
	v_xor_b32_e32 v48, 0x80000000, v7
	v_cndmask_b32_e64 v7, v7, v48, s[12:13]
	v_cndmask_b32_e64 v6, v6, v6, s[12:13]
	v_mfma_f64_16x16x4f64 v[48:55], v[0:1], v[4:5], 0
	s_add_u32 s34, s34, 4
	s_addc_u32 s35, s35, 0
	v_add_co_u32_e64 v34, s[8:9], s36, v34
	v_mfma_f64_16x16x4f64 v[56:63], v[2:3], v[6:7], 0
	s_nop 7
	s_nop 2
	v_add_f64 v[54:55], v[54:55], -v[62:63]
	v_pk_mov_b32 v[62:63], s[16:17], s[16:17] op_sel:[0,1]
	v_cmp_ge_i64_e32 vcc, s[34:35], v[62:63]
	v_mfma_f64_16x16x4f64 v[62:69], v[0:1], v[6:7], 0
	s_and_b64 vcc, exec, vcc
	v_add_f64 v[52:53], v[52:53], -v[60:61]
	v_add_f64 v[50:51], v[50:51], -v[58:59]
	;; [unrolled: 1-line block ×3, first 2 shown]
	v_add_f64 v[36:37], v[36:37], v[48:49]
	v_add_f64 v[32:33], v[32:33], v[50:51]
	;; [unrolled: 1-line block ×4, first 2 shown]
	v_mfma_f64_16x16x4f64 v[0:7], v[2:3], v[4:5], 0
	s_nop 7
	s_nop 2
	v_add_f64 v[0:1], v[62:63], v[0:1]
	v_add_f64 v[38:39], v[38:39], v[0:1]
	v_mov_b32_e32 v0, s37
	v_addc_co_u32_e64 v29, s[8:9], v29, v0, s[8:9]
	v_mov_b32_e32 v0, s39
	v_add_co_u32_e64 v40, s[8:9], s38, v40
	v_addc_co_u32_e64 v41, s[8:9], v41, v0, s[8:9]
	v_mov_b32_e32 v0, s21
	v_add_co_u32_e64 v42, s[8:9], s20, v42
	v_addc_co_u32_e64 v35, s[8:9], v35, v0, s[8:9]
	v_add_f64 v[6:7], v[68:69], v[6:7]
	v_add_f64 v[4:5], v[66:67], v[4:5]
	;; [unrolled: 1-line block ×3, first 2 shown]
	v_mov_b32_e32 v0, s25
	v_add_co_u32_e64 v44, s[8:9], s24, v44
	v_add_f64 v[30:31], v[30:31], v[2:3]
	v_add_f64 v[24:25], v[24:25], v[4:5]
	;; [unrolled: 1-line block ×3, first 2 shown]
	v_addc_co_u32_e64 v45, s[8:9], v45, v0, s[8:9]
	s_cbranch_vccnz .LBB62_28
.LBB62_6:                               ; =>This Inner Loop Header: Depth=1
	s_and_b64 vcc, exec, s[48:49]
	s_cbranch_vccz .LBB62_18
; %bb.7:                                ;   in Loop: Header=BB62_6 Depth=1
	v_pk_mov_b32 v[0:1], 0, 0
	s_mov_b64 s[8:9], 0
	v_pk_mov_b32 v[2:3], v[0:1], v[0:1] op_sel:[0,1]
	s_and_saveexec_b64 s[26:27], s[2:3]
	s_cbranch_execz .LBB62_11
; %bb.8:                                ;   in Loop: Header=BB62_6 Depth=1
	v_mov_b32_e32 v1, s35
	v_add_co_u32_e32 v0, vcc, s34, v10
	v_addc_co_u32_e32 v1, vcc, 0, v1, vcc
	v_pk_mov_b32 v[2:3], 0, 0
	v_cmp_gt_i64_e32 vcc, s[16:17], v[0:1]
	v_pk_mov_b32 v[0:1], v[2:3], v[2:3] op_sel:[0,1]
	s_and_saveexec_b64 s[40:41], vcc
	s_cbranch_execz .LBB62_10
; %bb.9:                                ;   in Loop: Header=BB62_6 Depth=1
	v_mov_b32_e32 v1, s23
	v_add_co_u32_e32 v0, vcc, s22, v42
	v_addc_co_u32_e32 v1, vcc, v35, v1, vcc
	global_load_dwordx4 v[0:3], v[0:1], off offset:-8
.LBB62_10:                              ;   in Loop: Header=BB62_6 Depth=1
	s_or_b64 exec, exec, s[40:41]
.LBB62_11:                              ;   in Loop: Header=BB62_6 Depth=1
	s_or_b64 exec, exec, s[26:27]
	s_waitcnt vmcnt(0)
	ds_bpermute_b32 v0, v47, v0
	ds_bpermute_b32 v1, v47, v1
	;; [unrolled: 1-line block ×4, first 2 shown]
	s_and_b64 vcc, exec, s[8:9]
	s_cbranch_vccnz .LBB62_19
.LBB62_12:                              ;   in Loop: Header=BB62_6 Depth=1
	s_and_b64 vcc, exec, s[50:51]
	s_cbranch_vccz .LBB62_24
.LBB62_13:                              ;   in Loop: Header=BB62_6 Depth=1
	v_pk_mov_b32 v[6:7], 0, 0
	s_mov_b64 s[8:9], 0
	v_pk_mov_b32 v[4:5], v[6:7], v[6:7] op_sel:[0,1]
	s_and_saveexec_b64 s[26:27], s[14:15]
	s_cbranch_execz .LBB62_17
; %bb.14:                               ;   in Loop: Header=BB62_6 Depth=1
	v_mov_b32_e32 v5, s35
	v_add_co_u32_e32 v4, vcc, s34, v28
	v_addc_co_u32_e32 v5, vcc, 0, v5, vcc
	v_pk_mov_b32 v[6:7], 0, 0
	v_cmp_gt_i64_e32 vcc, s[16:17], v[4:5]
	v_pk_mov_b32 v[4:5], v[6:7], v[6:7] op_sel:[0,1]
	s_and_saveexec_b64 s[40:41], vcc
	s_cbranch_execz .LBB62_16
; %bb.15:                               ;   in Loop: Header=BB62_6 Depth=1
	global_load_dwordx4 v[4:7], v[40:41], off offset:-8
.LBB62_16:                              ;   in Loop: Header=BB62_6 Depth=1
	s_or_b64 exec, exec, s[40:41]
.LBB62_17:                              ;   in Loop: Header=BB62_6 Depth=1
	s_or_b64 exec, exec, s[26:27]
	s_andn2_b64 vcc, exec, s[8:9]
	s_cbranch_vccnz .LBB62_5
	s_branch .LBB62_25
.LBB62_18:                              ;   in Loop: Header=BB62_6 Depth=1
                                        ; implicit-def: $vgpr2_vgpr3
	s_cbranch_execz .LBB62_12
.LBB62_19:                              ;   in Loop: Header=BB62_6 Depth=1
	s_waitcnt lgkmcnt(0)
	v_pk_mov_b32 v[2:3], 0, 0
	v_pk_mov_b32 v[0:1], v[2:3], v[2:3] op_sel:[0,1]
	s_and_saveexec_b64 s[8:9], s[6:7]
	s_cbranch_execz .LBB62_23
; %bb.20:                               ;   in Loop: Header=BB62_6 Depth=1
	v_mov_b32_e32 v1, s35
	v_add_co_u32_e32 v0, vcc, s34, v28
	v_addc_co_u32_e32 v1, vcc, 0, v1, vcc
	v_pk_mov_b32 v[2:3], 0, 0
	v_cmp_gt_i64_e32 vcc, s[16:17], v[0:1]
	v_pk_mov_b32 v[0:1], v[2:3], v[2:3] op_sel:[0,1]
	s_and_saveexec_b64 s[26:27], vcc
	s_cbranch_execz .LBB62_22
; %bb.21:                               ;   in Loop: Header=BB62_6 Depth=1
	v_mov_b32_e32 v1, s23
	v_add_co_u32_e32 v0, vcc, s22, v34
	v_addc_co_u32_e32 v1, vcc, v29, v1, vcc
	global_load_dwordx4 v[0:3], v[0:1], off offset:-8
.LBB62_22:                              ;   in Loop: Header=BB62_6 Depth=1
	s_or_b64 exec, exec, s[26:27]
.LBB62_23:                              ;   in Loop: Header=BB62_6 Depth=1
	s_or_b64 exec, exec, s[8:9]
	s_and_b64 vcc, exec, s[50:51]
	s_cbranch_vccnz .LBB62_13
.LBB62_24:                              ;   in Loop: Header=BB62_6 Depth=1
                                        ; implicit-def: $vgpr6_vgpr7
.LBB62_25:                              ;   in Loop: Header=BB62_6 Depth=1
	s_waitcnt vmcnt(0)
	v_pk_mov_b32 v[4:5], 0, 0
	v_pk_mov_b32 v[6:7], v[4:5], v[4:5] op_sel:[0,1]
	s_and_saveexec_b64 s[8:9], s[0:1]
	s_cbranch_execz .LBB62_4
; %bb.26:                               ;   in Loop: Header=BB62_6 Depth=1
	v_mov_b32_e32 v5, s35
	v_add_co_u32_e32 v4, vcc, s34, v10
	v_addc_co_u32_e32 v5, vcc, 0, v5, vcc
	v_pk_mov_b32 v[6:7], 0, 0
	v_cmp_gt_i64_e32 vcc, s[16:17], v[4:5]
	v_pk_mov_b32 v[4:5], v[6:7], v[6:7] op_sel:[0,1]
	s_and_saveexec_b64 s[26:27], vcc
	s_cbranch_execz .LBB62_3
; %bb.27:                               ;   in Loop: Header=BB62_6 Depth=1
	global_load_dwordx4 v[4:7], v[44:45], off offset:-8
	s_branch .LBB62_3
.LBB62_28:
	s_load_dwordx4 s[0:3], s[4:5], 0x88
	s_load_dwordx2 s[6:7], s[4:5], 0x98
	s_waitcnt lgkmcnt(0)
	s_lshl_b64 s[0:1], s[0:1], 4
	s_add_u32 s4, s18, s0
	v_mul_lo_u32 v2, v15, s6
	v_mul_lo_u32 v3, v14, s7
	s_addc_u32 s5, s19, s1
	v_mad_u64_u32 v[0:1], s[0:1], v14, s6, 0
	v_add3_u32 v1, v1, v3, v2
	v_mul_lo_u32 v4, v13, s2
	v_mul_lo_u32 v5, v12, s3
	v_mad_u64_u32 v[2:3], s[0:1], v12, s2, 0
	v_lshlrev_b64 v[0:1], 4, v[0:1]
	v_add3_u32 v3, v3, v5, v4
	v_mov_b32_e32 v4, s5
	v_add_co_u32_e32 v5, vcc, s4, v0
	v_addc_co_u32_e32 v4, vcc, v4, v1, vcc
	v_lshlrev_b64 v[0:1], 4, v[2:3]
	v_add_co_u32_e32 v6, vcc, v5, v0
	v_lshl_or_b32 v0, v43, 4, v18
	v_addc_co_u32_e32 v7, vcc, v4, v1, vcc
	v_mbcnt_hi_u32_b32 v1, -1, v46
	v_and_b32_e32 v0, 63, v0
	v_and_or_b32 v0, v1, 64, v0
	v_lshlrev_b32_e32 v12, 2, v0
	v_mad_u64_u32 v[0:1], s[0:1], v18, s6, 0
	v_mov_b32_e32 v2, v1
	v_mad_u64_u32 v[2:3], s[0:1], v18, s7, v[2:3]
	v_mov_b32_e32 v1, v2
	v_lshlrev_b64 v[4:5], 4, v[0:1]
	ds_bpermute_b32 v0, v12, v36
	ds_bpermute_b32 v1, v12, v37
	;; [unrolled: 1-line block ×4, first 2 shown]
	v_add_co_u32_e64 v6, s[0:1], v6, v4
	v_addc_co_u32_e64 v7, s[0:1], v7, v5, s[0:1]
	v_cmp_lt_u64_e32 vcc, v[18:19], v[16:17]
	v_cmp_lt_u64_e64 s[0:1], v[10:11], v[8:9]
	s_and_b64 s[0:1], vcc, s[0:1]
	s_and_saveexec_b64 s[4:5], s[0:1]
	s_cbranch_execz .LBB62_30
; %bb.29:
	v_mad_u64_u32 v[4:5], s[0:1], v10, s2, 0
	v_mov_b32_e32 v14, v5
	v_mad_u64_u32 v[14:15], s[0:1], v10, s3, v[14:15]
	v_mov_b32_e32 v5, v14
	v_lshlrev_b64 v[4:5], 4, v[4:5]
	v_add_co_u32_e64 v4, s[0:1], v6, v4
	v_addc_co_u32_e64 v5, s[0:1], v7, v5, s[0:1]
	global_load_dwordx4 v[14:17], v[4:5], off
	s_waitcnt lgkmcnt(0)
	v_mul_f64 v[18:19], s[54:55], v[2:3]
	v_mul_f64 v[2:3], s[52:53], v[2:3]
	v_fma_f64 v[18:19], s[52:53], v[0:1], -v[18:19]
	v_fmac_f64_e32 v[2:3], s[54:55], v[0:1]
	s_waitcnt vmcnt(0)
	v_mul_f64 v[0:1], s[30:31], v[16:17]
	v_mul_f64 v[16:17], s[28:29], v[16:17]
	v_fma_f64 v[0:1], s[28:29], v[14:15], -v[0:1]
	v_fmac_f64_e32 v[16:17], s[30:31], v[14:15]
	v_add_f64 v[0:1], v[18:19], v[0:1]
	v_add_f64 v[2:3], v[2:3], v[16:17]
	global_store_dwordx4 v[4:5], v[0:3], off
.LBB62_30:
	s_or_b64 exec, exec, s[4:5]
	s_waitcnt lgkmcnt(3)
	ds_bpermute_b32 v0, v12, v32
	s_waitcnt lgkmcnt(3)
	ds_bpermute_b32 v1, v12, v33
	s_waitcnt lgkmcnt(3)
	ds_bpermute_b32 v2, v12, v30
	s_waitcnt lgkmcnt(3)
	ds_bpermute_b32 v3, v12, v31
	v_or_b32_e32 v4, 4, v10
	v_mov_b32_e32 v5, v11
	v_cmp_lt_u64_e64 s[0:1], v[4:5], v[8:9]
	s_and_b64 s[0:1], vcc, s[0:1]
	s_and_saveexec_b64 s[4:5], s[0:1]
	s_cbranch_execz .LBB62_32
; %bb.31:
	v_mad_u64_u32 v[14:15], s[0:1], v4, s2, 0
	v_mov_b32_e32 v16, v15
	v_mad_u64_u32 v[4:5], s[0:1], v4, s3, v[16:17]
	v_mov_b32_e32 v15, v4
	v_lshlrev_b64 v[4:5], 4, v[14:15]
	v_add_co_u32_e64 v4, s[0:1], v6, v4
	v_addc_co_u32_e64 v5, s[0:1], v7, v5, s[0:1]
	global_load_dwordx4 v[14:17], v[4:5], off
	s_waitcnt lgkmcnt(0)
	v_mul_f64 v[18:19], s[54:55], v[2:3]
	v_mul_f64 v[2:3], s[52:53], v[2:3]
	v_fma_f64 v[18:19], s[52:53], v[0:1], -v[18:19]
	v_fmac_f64_e32 v[2:3], s[54:55], v[0:1]
	s_waitcnt vmcnt(0)
	v_mul_f64 v[0:1], s[30:31], v[16:17]
	v_mul_f64 v[16:17], s[28:29], v[16:17]
	v_fma_f64 v[0:1], s[28:29], v[14:15], -v[0:1]
	v_fmac_f64_e32 v[16:17], s[30:31], v[14:15]
	v_add_f64 v[0:1], v[18:19], v[0:1]
	v_add_f64 v[2:3], v[2:3], v[16:17]
	global_store_dwordx4 v[4:5], v[0:3], off
.LBB62_32:
	s_or_b64 exec, exec, s[4:5]
	s_waitcnt lgkmcnt(3)
	ds_bpermute_b32 v0, v12, v26
	s_waitcnt lgkmcnt(3)
	ds_bpermute_b32 v1, v12, v27
	;; [unrolled: 2-line block ×4, first 2 shown]
	v_or_b32_e32 v4, 8, v10
	v_mov_b32_e32 v5, v11
	v_cmp_lt_u64_e64 s[0:1], v[4:5], v[8:9]
	s_and_b64 s[0:1], vcc, s[0:1]
	s_and_saveexec_b64 s[4:5], s[0:1]
	s_cbranch_execz .LBB62_34
; %bb.33:
	v_mad_u64_u32 v[14:15], s[0:1], v4, s2, 0
	v_mov_b32_e32 v16, v15
	v_mad_u64_u32 v[4:5], s[0:1], v4, s3, v[16:17]
	v_mov_b32_e32 v15, v4
	v_lshlrev_b64 v[4:5], 4, v[14:15]
	v_add_co_u32_e64 v4, s[0:1], v6, v4
	v_addc_co_u32_e64 v5, s[0:1], v7, v5, s[0:1]
	global_load_dwordx4 v[14:17], v[4:5], off
	s_waitcnt lgkmcnt(0)
	v_mul_f64 v[18:19], s[54:55], v[2:3]
	v_mul_f64 v[2:3], s[52:53], v[2:3]
	v_fma_f64 v[18:19], s[52:53], v[0:1], -v[18:19]
	v_fmac_f64_e32 v[2:3], s[54:55], v[0:1]
	s_waitcnt vmcnt(0)
	v_mul_f64 v[0:1], s[30:31], v[16:17]
	v_mul_f64 v[16:17], s[28:29], v[16:17]
	v_fma_f64 v[0:1], s[28:29], v[14:15], -v[0:1]
	v_fmac_f64_e32 v[16:17], s[30:31], v[14:15]
	v_add_f64 v[0:1], v[18:19], v[0:1]
	v_add_f64 v[2:3], v[2:3], v[16:17]
	global_store_dwordx4 v[4:5], v[0:3], off
.LBB62_34:
	s_or_b64 exec, exec, s[4:5]
	s_waitcnt lgkmcnt(3)
	ds_bpermute_b32 v0, v12, v22
	s_waitcnt lgkmcnt(3)
	ds_bpermute_b32 v1, v12, v23
	;; [unrolled: 2-line block ×4, first 2 shown]
	v_or_b32_e32 v10, 12, v10
	v_cmp_lt_u64_e64 s[0:1], v[10:11], v[8:9]
	s_and_b64 s[0:1], vcc, s[0:1]
	s_and_b64 exec, exec, s[0:1]
	s_cbranch_execz .LBB62_36
; %bb.35:
	v_mad_u64_u32 v[4:5], s[0:1], v10, s2, 0
	v_mov_b32_e32 v8, v5
	v_mad_u64_u32 v[8:9], s[0:1], v10, s3, v[8:9]
	v_mov_b32_e32 v5, v8
	v_lshlrev_b64 v[4:5], 4, v[4:5]
	v_add_co_u32_e32 v8, vcc, v6, v4
	v_addc_co_u32_e32 v9, vcc, v7, v5, vcc
	global_load_dwordx4 v[4:7], v[8:9], off
	s_waitcnt lgkmcnt(0)
	v_mul_f64 v[10:11], s[54:55], v[2:3]
	v_mul_f64 v[2:3], s[52:53], v[2:3]
	v_fma_f64 v[10:11], s[52:53], v[0:1], -v[10:11]
	v_fmac_f64_e32 v[2:3], s[54:55], v[0:1]
	s_waitcnt vmcnt(0)
	v_mul_f64 v[0:1], s[30:31], v[6:7]
	v_mul_f64 v[6:7], s[28:29], v[6:7]
	v_fma_f64 v[0:1], s[28:29], v[4:5], -v[0:1]
	v_fmac_f64_e32 v[6:7], s[30:31], v[4:5]
	v_add_f64 v[0:1], v[10:11], v[0:1]
	v_add_f64 v[2:3], v[2:3], v[6:7]
	global_store_dwordx4 v[8:9], v[0:3], off
.LBB62_36:
	s_endpgm
	.section	.rodata,"a",@progbits
	.p2align	6, 0x0
	.amdhsa_kernel _ZN9rocsolver6v33100L16mfma_gemm_kernelI19rocblas_complex_numIdElPKS3_PS3_S6_PKS6_EEv18rocblas_operation_S9_T0_SA_SA_T1_T2_lSA_SA_lT3_lSA_SA_lSB_T4_lSA_SA_l
		.amdhsa_group_segment_fixed_size 0
		.amdhsa_private_segment_fixed_size 0
		.amdhsa_kernarg_size 424
		.amdhsa_user_sgpr_count 6
		.amdhsa_user_sgpr_private_segment_buffer 1
		.amdhsa_user_sgpr_dispatch_ptr 0
		.amdhsa_user_sgpr_queue_ptr 0
		.amdhsa_user_sgpr_kernarg_segment_ptr 1
		.amdhsa_user_sgpr_dispatch_id 0
		.amdhsa_user_sgpr_flat_scratch_init 0
		.amdhsa_user_sgpr_kernarg_preload_length 0
		.amdhsa_user_sgpr_kernarg_preload_offset 0
		.amdhsa_user_sgpr_private_segment_size 0
		.amdhsa_uses_dynamic_stack 0
		.amdhsa_system_sgpr_private_segment_wavefront_offset 0
		.amdhsa_system_sgpr_workgroup_id_x 1
		.amdhsa_system_sgpr_workgroup_id_y 1
		.amdhsa_system_sgpr_workgroup_id_z 1
		.amdhsa_system_sgpr_workgroup_info 0
		.amdhsa_system_vgpr_workitem_id 1
		.amdhsa_next_free_vgpr 70
		.amdhsa_next_free_sgpr 60
		.amdhsa_accum_offset 72
		.amdhsa_reserve_vcc 1
		.amdhsa_reserve_flat_scratch 0
		.amdhsa_float_round_mode_32 0
		.amdhsa_float_round_mode_16_64 0
		.amdhsa_float_denorm_mode_32 3
		.amdhsa_float_denorm_mode_16_64 3
		.amdhsa_dx10_clamp 1
		.amdhsa_ieee_mode 1
		.amdhsa_fp16_overflow 0
		.amdhsa_tg_split 0
		.amdhsa_exception_fp_ieee_invalid_op 0
		.amdhsa_exception_fp_denorm_src 0
		.amdhsa_exception_fp_ieee_div_zero 0
		.amdhsa_exception_fp_ieee_overflow 0
		.amdhsa_exception_fp_ieee_underflow 0
		.amdhsa_exception_fp_ieee_inexact 0
		.amdhsa_exception_int_div_zero 0
	.end_amdhsa_kernel
	.section	.text._ZN9rocsolver6v33100L16mfma_gemm_kernelI19rocblas_complex_numIdElPKS3_PS3_S6_PKS6_EEv18rocblas_operation_S9_T0_SA_SA_T1_T2_lSA_SA_lT3_lSA_SA_lSB_T4_lSA_SA_l,"axG",@progbits,_ZN9rocsolver6v33100L16mfma_gemm_kernelI19rocblas_complex_numIdElPKS3_PS3_S6_PKS6_EEv18rocblas_operation_S9_T0_SA_SA_T1_T2_lSA_SA_lT3_lSA_SA_lSB_T4_lSA_SA_l,comdat
.Lfunc_end62:
	.size	_ZN9rocsolver6v33100L16mfma_gemm_kernelI19rocblas_complex_numIdElPKS3_PS3_S6_PKS6_EEv18rocblas_operation_S9_T0_SA_SA_T1_T2_lSA_SA_lT3_lSA_SA_lSB_T4_lSA_SA_l, .Lfunc_end62-_ZN9rocsolver6v33100L16mfma_gemm_kernelI19rocblas_complex_numIdElPKS3_PS3_S6_PKS6_EEv18rocblas_operation_S9_T0_SA_SA_T1_T2_lSA_SA_lT3_lSA_SA_lSB_T4_lSA_SA_l
                                        ; -- End function
	.section	.AMDGPU.csdata,"",@progbits
; Kernel info:
; codeLenInByte = 3040
; NumSgprs: 64
; NumVgprs: 70
; NumAgprs: 0
; TotalNumVgprs: 70
; ScratchSize: 0
; MemoryBound: 1
; FloatMode: 240
; IeeeMode: 1
; LDSByteSize: 0 bytes/workgroup (compile time only)
; SGPRBlocks: 7
; VGPRBlocks: 8
; NumSGPRsForWavesPerEU: 64
; NumVGPRsForWavesPerEU: 70
; AccumOffset: 72
; Occupancy: 7
; WaveLimiterHint : 1
; COMPUTE_PGM_RSRC2:SCRATCH_EN: 0
; COMPUTE_PGM_RSRC2:USER_SGPR: 6
; COMPUTE_PGM_RSRC2:TRAP_HANDLER: 0
; COMPUTE_PGM_RSRC2:TGID_X_EN: 1
; COMPUTE_PGM_RSRC2:TGID_Y_EN: 1
; COMPUTE_PGM_RSRC2:TGID_Z_EN: 1
; COMPUTE_PGM_RSRC2:TIDIG_COMP_CNT: 1
; COMPUTE_PGM_RSRC3_GFX90A:ACCUM_OFFSET: 17
; COMPUTE_PGM_RSRC3_GFX90A:TG_SPLIT: 0
	.section	.text._ZN9rocsolver6v33100L16mfma_gemm_kernelI19rocblas_complex_numIdElS3_PS3_S4_PKS4_EEv18rocblas_operation_S7_T0_S8_S8_T1_T2_lS8_S8_lT3_lS8_S8_lS9_T4_lS8_S8_l,"axG",@progbits,_ZN9rocsolver6v33100L16mfma_gemm_kernelI19rocblas_complex_numIdElS3_PS3_S4_PKS4_EEv18rocblas_operation_S7_T0_S8_S8_T1_T2_lS8_S8_lT3_lS8_S8_lS9_T4_lS8_S8_l,comdat
	.globl	_ZN9rocsolver6v33100L16mfma_gemm_kernelI19rocblas_complex_numIdElS3_PS3_S4_PKS4_EEv18rocblas_operation_S7_T0_S8_S8_T1_T2_lS8_S8_lT3_lS8_S8_lS9_T4_lS8_S8_l ; -- Begin function _ZN9rocsolver6v33100L16mfma_gemm_kernelI19rocblas_complex_numIdElS3_PS3_S4_PKS4_EEv18rocblas_operation_S7_T0_S8_S8_T1_T2_lS8_S8_lT3_lS8_S8_lS9_T4_lS8_S8_l
	.p2align	8
	.type	_ZN9rocsolver6v33100L16mfma_gemm_kernelI19rocblas_complex_numIdElS3_PS3_S4_PKS4_EEv18rocblas_operation_S7_T0_S8_S8_T1_T2_lS8_S8_lT3_lS8_S8_lS9_T4_lS8_S8_l,@function
_ZN9rocsolver6v33100L16mfma_gemm_kernelI19rocblas_complex_numIdElS3_PS3_S4_PKS4_EEv18rocblas_operation_S7_T0_S8_S8_T1_T2_lS8_S8_lT3_lS8_S8_lS9_T4_lS8_S8_l: ; @_ZN9rocsolver6v33100L16mfma_gemm_kernelI19rocblas_complex_numIdElS3_PS3_S4_PKS4_EEv18rocblas_operation_S7_T0_S8_S8_T1_T2_lS8_S8_lT3_lS8_S8_lS9_T4_lS8_S8_l
; %bb.0:
	s_load_dword s0, s[4:5], 0xc4
	s_load_dwordx16 s[12:27], s[4:5], 0x8
	v_and_b32_e32 v4, 0x3ff, v0
	v_mov_b32_e32 v9, 0
	v_lshrrev_b32_e32 v8, 6, v4
	s_waitcnt lgkmcnt(0)
	s_lshr_b32 s2, s0, 16
	s_bfe_u32 s0, s0, 0xa0006
	v_bfe_u32 v0, v0, 10, 10
	v_mov_b32_e32 v1, v9
	v_mov_b32_e32 v2, s6
	v_mov_b32_e32 v5, s7
	v_mad_u64_u32 v[2:3], s[0:1], s0, v2, v[8:9]
	v_mad_u64_u32 v[0:1], s[0:1], s2, v5, v[0:1]
	v_lshlrev_b64 v[12:13], 4, v[2:3]
	v_lshlrev_b64 v[16:17], 4, v[0:1]
	v_cmp_gt_i64_e32 vcc, s[12:13], v[12:13]
	v_cmp_gt_i64_e64 s[0:1], s[14:15], v[16:17]
	s_and_b64 s[0:1], vcc, s[0:1]
	s_and_saveexec_b64 s[2:3], s[0:1]
	s_cbranch_execz .LBB63_36
; %bb.1:
	s_load_dwordx16 s[36:51], s[4:5], 0x48
	s_load_dwordx2 s[28:29], s[4:5], 0xa8
	s_load_dwordx8 s[52:59], s[4:5], 0x88
	v_add_co_u32_e32 v6, vcc, 16, v12
	v_addc_co_u32_e32 v7, vcc, 0, v13, vcc
	s_and_b32 s0, s12, 15
	v_mov_b32_e32 v5, s0
	v_cmp_lt_u64_e32 vcc, s[12:13], v[6:7]
	s_mov_b32 s9, 0
	s_and_b32 s0, s14, 15
	v_cndmask_b32_e32 v8, 16, v5, vcc
	v_mov_b32_e32 v5, s0
	s_lshl_b64 s[0:1], s[8:9], 3
	v_add_co_u32_e32 v6, vcc, 16, v16
	s_waitcnt lgkmcnt(0)
	s_add_u32 s0, s54, s0
	v_addc_co_u32_e32 v7, vcc, 0, v17, vcc
	s_addc_u32 s1, s55, s1
	v_cmp_lt_u64_e32 vcc, s[14:15], v[6:7]
	s_load_dwordx2 s[14:15], s[0:1], 0x0
	v_cndmask_b32_e32 v14, 16, v5, vcc
	v_mov_b32_e32 v15, v9
	v_bfe_u32 v18, v4, 2, 4
	v_mov_b32_e32 v19, v9
	v_cmp_lt_i64_e64 s[0:1], s[16:17], 1
	v_pk_mov_b32 v[36:37], 0, 0
	v_and_b32_e32 v46, 63, v4
	v_and_b32_e32 v10, 3, v4
	v_mov_b32_e32 v11, v9
	s_mov_b64 s[30:31], 0
	s_and_b64 vcc, exec, s[0:1]
	v_cmp_lt_u64_e64 s[0:1], v[18:19], v[14:15]
	v_mbcnt_lo_u32_b32 v43, -1, 0
	v_pk_mov_b32 v[38:39], v[36:37], v[36:37] op_sel:[0,1]
	v_pk_mov_b32 v[20:21], v[36:37], v[36:37] op_sel:[0,1]
	;; [unrolled: 1-line block ×7, first 2 shown]
	s_cbranch_vccnz .LBB63_28
; %bb.2:
	s_load_dwordx2 s[10:11], s[4:5], 0x0
	v_mov_b32_e32 v5, 0
	v_and_b32_e32 v4, 15, v46
	v_lshrrev_b32_e32 v28, 4, v46
	v_cmp_lt_u64_e64 s[4:5], v[4:5], v[8:9]
	s_waitcnt lgkmcnt(0)
	s_cmpk_lg_i32 s10, 0x6f
	s_cselect_b64 s[34:35], -1, 0
	s_cmpk_lg_i32 s11, 0x6f
	s_cselect_b64 s[54:55], -1, 0
	s_cmpk_eq_i32 s11, 0x6f
	s_cselect_b32 s9, s46, s44
	s_cselect_b32 s33, s47, s45
	s_cmpk_eq_i32 s10, 0x6f
	s_cselect_b32 s60, s26, s36
	s_cselect_b32 s61, s27, s37
	v_cmp_lt_u64_e64 s[6:7], v[4:5], v[14:15]
	v_mul_lo_u32 v5, s61, v2
	v_mul_lo_u32 v6, s60, v3
	v_mad_u64_u32 v[2:3], s[60:61], s60, v2, 0
	v_add3_u32 v3, v3, v6, v5
	v_mad_u64_u32 v[6:7], s[60:61], s36, v28, 0
	v_mov_b32_e32 v20, v7
	v_mad_u64_u32 v[20:21], s[60:61], s37, v28, v[20:21]
	s_cmpk_eq_i32 s10, 0x71
	v_mov_b32_e32 v7, v20
	s_cselect_b64 s[12:13], -1, 0
	s_cmpk_eq_i32 s11, 0x71
	v_lshlrev_b64 v[2:3], 8, v[2:3]
	v_lshlrev_b64 v[6:7], 4, v[6:7]
	s_mul_i32 s39, s39, s8
	s_mul_hi_u32 s60, s38, s8
	s_cselect_b64 s[10:11], -1, 0
	v_add_co_u32_e32 v5, vcc, v2, v6
	s_add_i32 s39, s60, s39
	s_mul_i32 s38, s38, s8
	v_addc_co_u32_e32 v6, vcc, v3, v7, vcc
	s_lshl_b64 s[60:61], s[38:39], 4
	v_mov_b32_e32 v23, s61
	v_add_co_u32_e32 v5, vcc, s60, v5
	v_addc_co_u32_e32 v24, vcc, v6, v23, vcc
	v_mad_u64_u32 v[6:7], s[38:39], s26, v4, 0
	v_mov_b32_e32 v20, v7
	v_mad_u64_u32 v[20:21], s[38:39], s27, v4, v[20:21]
	v_mov_b32_e32 v7, v20
	v_lshlrev_b64 v[6:7], 4, v[6:7]
	v_add_co_u32_e32 v5, vcc, v5, v6
	v_addc_co_u32_e32 v6, vcc, v24, v7, vcc
	v_mov_b32_e32 v7, s23
	v_add_co_u32_e32 v5, vcc, s22, v5
	v_addc_co_u32_e32 v6, vcc, v6, v7, vcc
	v_add_co_u32_e32 v34, vcc, 8, v5
	v_addc_co_u32_e32 v29, vcc, 0, v6, vcc
	v_mul_lo_u32 v5, s33, v0
	v_mul_lo_u32 v6, s9, v1
	v_mad_u64_u32 v[0:1], s[62:63], s9, v0, 0
	v_add3_u32 v1, v1, v6, v5
	v_mad_u64_u32 v[6:7], s[62:63], s46, v28, 0
	v_mov_b32_e32 v20, v7
	v_mad_u64_u32 v[20:21], s[62:63], s47, v28, v[20:21]
	v_mov_b32_e32 v7, v20
	v_lshlrev_b64 v[0:1], 8, v[0:1]
	v_lshlrev_b64 v[6:7], 4, v[6:7]
	s_mul_i32 s9, s49, s8
	s_mul_hi_u32 s33, s48, s8
	v_add_co_u32_e32 v5, vcc, v0, v6
	s_add_i32 s9, s33, s9
	s_mul_i32 s8, s48, s8
	v_addc_co_u32_e32 v6, vcc, v1, v7, vcc
	s_lshl_b64 s[8:9], s[8:9], 4
	v_mov_b32_e32 v21, s9
	v_add_co_u32_e32 v24, vcc, s8, v5
	v_addc_co_u32_e32 v25, vcc, v6, v21, vcc
	v_mad_u64_u32 v[6:7], s[48:49], s44, v4, 0
	v_mov_b32_e32 v20, v7
	v_lshl_or_b32 v22, v4, 2, v28
	v_mad_u64_u32 v[4:5], s[48:49], s45, v4, v[20:21]
	v_mov_b32_e32 v7, v4
	s_lshl_b64 s[24:25], s[24:25], 4
	s_lshl_b64 s[38:39], s[36:37], 6
	v_lshlrev_b64 v[4:5], 4, v[6:7]
	s_lshl_b64 s[42:43], s[42:43], 4
	v_add_co_u32_e32 v4, vcc, v24, v4
	s_add_u32 s33, s40, s42
	v_addc_co_u32_e32 v5, vcc, v25, v5, vcc
	s_addc_u32 s48, s41, s43
	v_mov_b32_e32 v6, s48
	v_add_co_u32_e32 v4, vcc, s33, v4
	v_addc_co_u32_e32 v5, vcc, v6, v5, vcc
	v_add_co_u32_e32 v40, vcc, 8, v4
	v_addc_co_u32_e32 v41, vcc, 0, v5, vcc
	v_mad_u64_u32 v[4:5], s[42:43], s36, v18, 0
	v_mov_b32_e32 v6, v5
	v_mad_u64_u32 v[6:7], s[36:37], s37, v18, v[6:7]
	v_mov_b32_e32 v5, v6
	v_lshlrev_b64 v[4:5], 4, v[4:5]
	v_add_co_u32_e32 v2, vcc, v2, v4
	v_addc_co_u32_e32 v3, vcc, v3, v5, vcc
	v_add_co_u32_e32 v6, vcc, s60, v2
	v_addc_co_u32_e32 v7, vcc, v3, v23, vcc
	v_mad_u64_u32 v[2:3], s[36:37], s26, v10, 0
	v_mov_b32_e32 v4, v3
	v_mad_u64_u32 v[4:5], s[36:37], s27, v10, v[4:5]
	v_mov_b32_e32 v3, v4
	v_lshlrev_b64 v[2:3], 4, v[2:3]
	v_add_co_u32_e32 v2, vcc, v6, v2
	v_addc_co_u32_e32 v3, vcc, v7, v3, vcc
	v_mov_b32_e32 v4, s23
	v_add_co_u32_e32 v2, vcc, s22, v2
	v_addc_co_u32_e32 v3, vcc, v3, v4, vcc
	v_add_co_u32_e32 v42, vcc, 8, v2
	v_addc_co_u32_e32 v35, vcc, 0, v3, vcc
	s_lshl_b64 s[22:23], s[26:27], 6
	v_mad_u64_u32 v[2:3], s[26:27], s46, v18, 0
	v_mov_b32_e32 v4, v3
	v_mad_u64_u32 v[4:5], s[26:27], s47, v18, v[4:5]
	v_mov_b32_e32 v3, v4
	v_lshlrev_b64 v[2:3], 4, v[2:3]
	v_add_co_u32_e32 v0, vcc, v0, v2
	v_addc_co_u32_e32 v1, vcc, v1, v3, vcc
	v_add_co_u32_e32 v4, vcc, s8, v0
	v_addc_co_u32_e32 v5, vcc, v1, v21, vcc
	v_mad_u64_u32 v[0:1], s[8:9], s44, v10, 0
	v_mov_b32_e32 v2, v1
	v_mad_u64_u32 v[2:3], s[8:9], s45, v10, v[2:3]
	v_mov_b32_e32 v1, v2
	v_lshlrev_b64 v[0:1], 4, v[0:1]
	v_add_co_u32_e32 v0, vcc, v4, v0
	v_addc_co_u32_e32 v1, vcc, v5, v1, vcc
	v_mov_b32_e32 v2, s48
	v_add_co_u32_e32 v0, vcc, s33, v0
	v_addc_co_u32_e32 v1, vcc, v2, v1, vcc
	v_add_co_u32_e32 v44, vcc, 8, v0
	v_mbcnt_hi_u32_b32 v0, -1, v43
	v_pk_mov_b32 v[20:21], 0, 0
	v_and_or_b32 v0, v0, 64, v22
	v_cmp_lt_u64_e64 s[2:3], v[18:19], v[8:9]
	s_lshl_b64 s[40:41], s[46:47], 6
	v_addc_co_u32_e32 v45, vcc, 0, v1, vcc
	s_lshl_b64 s[26:27], s[44:45], 6
	v_lshlrev_b32_e32 v47, 2, v0
	v_pk_mov_b32 v[24:25], v[20:21], v[20:21] op_sel:[0,1]
	v_pk_mov_b32 v[30:31], v[20:21], v[20:21] op_sel:[0,1]
	;; [unrolled: 1-line block ×7, first 2 shown]
	s_branch .LBB63_6
.LBB63_3:                               ;   in Loop: Header=BB63_6 Depth=1
	s_or_b64 exec, exec, s[36:37]
.LBB63_4:                               ;   in Loop: Header=BB63_6 Depth=1
	s_or_b64 exec, exec, s[8:9]
	s_waitcnt vmcnt(0)
	ds_bpermute_b32 v4, v47, v4
	ds_bpermute_b32 v5, v47, v5
	;; [unrolled: 1-line block ×4, first 2 shown]
.LBB63_5:                               ;   in Loop: Header=BB63_6 Depth=1
	s_waitcnt vmcnt(0) lgkmcnt(0)
	v_xor_b32_e32 v48, 0x80000000, v3
	v_cndmask_b32_e64 v3, v3, v48, s[12:13]
	v_cndmask_b32_e64 v2, v2, v2, s[12:13]
	v_xor_b32_e32 v48, 0x80000000, v7
	v_cndmask_b32_e64 v7, v7, v48, s[10:11]
	v_cndmask_b32_e64 v6, v6, v6, s[10:11]
	v_mfma_f64_16x16x4f64 v[48:55], v[0:1], v[4:5], 0
	s_add_u32 s30, s30, 4
	s_addc_u32 s31, s31, 0
	v_add_co_u32_e64 v34, s[8:9], s38, v34
	v_mfma_f64_16x16x4f64 v[56:63], v[2:3], v[6:7], 0
	s_nop 7
	s_nop 2
	v_add_f64 v[54:55], v[54:55], -v[62:63]
	v_pk_mov_b32 v[62:63], s[16:17], s[16:17] op_sel:[0,1]
	v_cmp_ge_i64_e32 vcc, s[30:31], v[62:63]
	v_mfma_f64_16x16x4f64 v[62:69], v[0:1], v[6:7], 0
	s_and_b64 vcc, exec, vcc
	v_add_f64 v[52:53], v[52:53], -v[60:61]
	v_add_f64 v[50:51], v[50:51], -v[58:59]
	;; [unrolled: 1-line block ×3, first 2 shown]
	v_add_f64 v[36:37], v[36:37], v[48:49]
	v_add_f64 v[32:33], v[32:33], v[50:51]
	;; [unrolled: 1-line block ×4, first 2 shown]
	v_mfma_f64_16x16x4f64 v[0:7], v[2:3], v[4:5], 0
	s_nop 7
	s_nop 2
	v_add_f64 v[0:1], v[62:63], v[0:1]
	v_add_f64 v[38:39], v[38:39], v[0:1]
	v_mov_b32_e32 v0, s39
	v_addc_co_u32_e64 v29, s[8:9], v29, v0, s[8:9]
	v_mov_b32_e32 v0, s41
	v_add_co_u32_e64 v40, s[8:9], s40, v40
	v_addc_co_u32_e64 v41, s[8:9], v41, v0, s[8:9]
	v_mov_b32_e32 v0, s23
	v_add_co_u32_e64 v42, s[8:9], s22, v42
	v_addc_co_u32_e64 v35, s[8:9], v35, v0, s[8:9]
	v_add_f64 v[6:7], v[68:69], v[6:7]
	v_add_f64 v[4:5], v[66:67], v[4:5]
	;; [unrolled: 1-line block ×3, first 2 shown]
	v_mov_b32_e32 v0, s27
	v_add_co_u32_e64 v44, s[8:9], s26, v44
	v_add_f64 v[30:31], v[30:31], v[2:3]
	v_add_f64 v[24:25], v[24:25], v[4:5]
	;; [unrolled: 1-line block ×3, first 2 shown]
	v_addc_co_u32_e64 v45, s[8:9], v45, v0, s[8:9]
	s_cbranch_vccnz .LBB63_28
.LBB63_6:                               ; =>This Inner Loop Header: Depth=1
	s_and_b64 vcc, exec, s[34:35]
	s_cbranch_vccz .LBB63_18
; %bb.7:                                ;   in Loop: Header=BB63_6 Depth=1
	v_pk_mov_b32 v[0:1], 0, 0
	s_mov_b64 s[8:9], 0
	v_pk_mov_b32 v[2:3], v[0:1], v[0:1] op_sel:[0,1]
	s_and_saveexec_b64 s[36:37], s[2:3]
	s_cbranch_execz .LBB63_11
; %bb.8:                                ;   in Loop: Header=BB63_6 Depth=1
	v_mov_b32_e32 v1, s31
	v_add_co_u32_e32 v0, vcc, s30, v10
	v_addc_co_u32_e32 v1, vcc, 0, v1, vcc
	v_pk_mov_b32 v[2:3], 0, 0
	v_cmp_gt_i64_e32 vcc, s[16:17], v[0:1]
	v_pk_mov_b32 v[0:1], v[2:3], v[2:3] op_sel:[0,1]
	s_and_saveexec_b64 s[42:43], vcc
	s_cbranch_execz .LBB63_10
; %bb.9:                                ;   in Loop: Header=BB63_6 Depth=1
	v_mov_b32_e32 v1, s25
	v_add_co_u32_e32 v0, vcc, s24, v42
	v_addc_co_u32_e32 v1, vcc, v35, v1, vcc
	global_load_dwordx4 v[0:3], v[0:1], off offset:-8
.LBB63_10:                              ;   in Loop: Header=BB63_6 Depth=1
	s_or_b64 exec, exec, s[42:43]
.LBB63_11:                              ;   in Loop: Header=BB63_6 Depth=1
	s_or_b64 exec, exec, s[36:37]
	s_waitcnt vmcnt(0)
	ds_bpermute_b32 v0, v47, v0
	ds_bpermute_b32 v1, v47, v1
	;; [unrolled: 1-line block ×4, first 2 shown]
	s_and_b64 vcc, exec, s[8:9]
	s_cbranch_vccnz .LBB63_19
.LBB63_12:                              ;   in Loop: Header=BB63_6 Depth=1
	s_and_b64 vcc, exec, s[54:55]
	s_cbranch_vccz .LBB63_24
.LBB63_13:                              ;   in Loop: Header=BB63_6 Depth=1
	v_pk_mov_b32 v[6:7], 0, 0
	s_mov_b64 s[8:9], 0
	v_pk_mov_b32 v[4:5], v[6:7], v[6:7] op_sel:[0,1]
	s_and_saveexec_b64 s[36:37], s[6:7]
	s_cbranch_execz .LBB63_17
; %bb.14:                               ;   in Loop: Header=BB63_6 Depth=1
	v_mov_b32_e32 v5, s31
	v_add_co_u32_e32 v4, vcc, s30, v28
	v_addc_co_u32_e32 v5, vcc, 0, v5, vcc
	v_pk_mov_b32 v[6:7], 0, 0
	v_cmp_gt_i64_e32 vcc, s[16:17], v[4:5]
	v_pk_mov_b32 v[4:5], v[6:7], v[6:7] op_sel:[0,1]
	s_and_saveexec_b64 s[42:43], vcc
	s_cbranch_execz .LBB63_16
; %bb.15:                               ;   in Loop: Header=BB63_6 Depth=1
	global_load_dwordx4 v[4:7], v[40:41], off offset:-8
.LBB63_16:                              ;   in Loop: Header=BB63_6 Depth=1
	s_or_b64 exec, exec, s[42:43]
.LBB63_17:                              ;   in Loop: Header=BB63_6 Depth=1
	s_or_b64 exec, exec, s[36:37]
	s_andn2_b64 vcc, exec, s[8:9]
	s_cbranch_vccnz .LBB63_5
	s_branch .LBB63_25
.LBB63_18:                              ;   in Loop: Header=BB63_6 Depth=1
                                        ; implicit-def: $vgpr2_vgpr3
	s_cbranch_execz .LBB63_12
.LBB63_19:                              ;   in Loop: Header=BB63_6 Depth=1
	s_waitcnt lgkmcnt(0)
	v_pk_mov_b32 v[2:3], 0, 0
	v_pk_mov_b32 v[0:1], v[2:3], v[2:3] op_sel:[0,1]
	s_and_saveexec_b64 s[8:9], s[4:5]
	s_cbranch_execz .LBB63_23
; %bb.20:                               ;   in Loop: Header=BB63_6 Depth=1
	v_mov_b32_e32 v1, s31
	v_add_co_u32_e32 v0, vcc, s30, v28
	v_addc_co_u32_e32 v1, vcc, 0, v1, vcc
	v_pk_mov_b32 v[2:3], 0, 0
	v_cmp_gt_i64_e32 vcc, s[16:17], v[0:1]
	v_pk_mov_b32 v[0:1], v[2:3], v[2:3] op_sel:[0,1]
	s_and_saveexec_b64 s[36:37], vcc
	s_cbranch_execz .LBB63_22
; %bb.21:                               ;   in Loop: Header=BB63_6 Depth=1
	v_mov_b32_e32 v1, s25
	v_add_co_u32_e32 v0, vcc, s24, v34
	v_addc_co_u32_e32 v1, vcc, v29, v1, vcc
	global_load_dwordx4 v[0:3], v[0:1], off offset:-8
.LBB63_22:                              ;   in Loop: Header=BB63_6 Depth=1
	s_or_b64 exec, exec, s[36:37]
.LBB63_23:                              ;   in Loop: Header=BB63_6 Depth=1
	s_or_b64 exec, exec, s[8:9]
	s_and_b64 vcc, exec, s[54:55]
	s_cbranch_vccnz .LBB63_13
.LBB63_24:                              ;   in Loop: Header=BB63_6 Depth=1
                                        ; implicit-def: $vgpr6_vgpr7
.LBB63_25:                              ;   in Loop: Header=BB63_6 Depth=1
	s_waitcnt vmcnt(0)
	v_pk_mov_b32 v[4:5], 0, 0
	v_pk_mov_b32 v[6:7], v[4:5], v[4:5] op_sel:[0,1]
	s_and_saveexec_b64 s[8:9], s[0:1]
	s_cbranch_execz .LBB63_4
; %bb.26:                               ;   in Loop: Header=BB63_6 Depth=1
	v_mov_b32_e32 v5, s31
	v_add_co_u32_e32 v4, vcc, s30, v10
	v_addc_co_u32_e32 v5, vcc, 0, v5, vcc
	v_pk_mov_b32 v[6:7], 0, 0
	v_cmp_gt_i64_e32 vcc, s[16:17], v[4:5]
	v_pk_mov_b32 v[4:5], v[6:7], v[6:7] op_sel:[0,1]
	s_and_saveexec_b64 s[36:37], vcc
	s_cbranch_execz .LBB63_3
; %bb.27:                               ;   in Loop: Header=BB63_6 Depth=1
	global_load_dwordx4 v[4:7], v[44:45], off offset:-8
	s_branch .LBB63_3
.LBB63_28:
	s_lshl_b64 s[0:1], s[56:57], 4
	s_waitcnt lgkmcnt(0)
	s_add_u32 s2, s14, s0
	s_addc_u32 s3, s15, s1
	v_mul_lo_u32 v2, v17, s28
	v_mul_lo_u32 v3, v16, s29
	v_mad_u64_u32 v[0:1], s[0:1], v16, s28, 0
	v_add3_u32 v1, v1, v3, v2
	v_mul_lo_u32 v4, v13, s58
	v_mul_lo_u32 v5, v12, s59
	v_mad_u64_u32 v[2:3], s[0:1], v12, s58, 0
	v_lshlrev_b64 v[0:1], 4, v[0:1]
	v_add3_u32 v3, v3, v5, v4
	v_mov_b32_e32 v4, s3
	v_add_co_u32_e32 v5, vcc, s2, v0
	v_addc_co_u32_e32 v4, vcc, v4, v1, vcc
	v_lshlrev_b64 v[0:1], 4, v[2:3]
	v_add_co_u32_e32 v6, vcc, v5, v0
	v_lshl_or_b32 v0, v46, 4, v18
	v_addc_co_u32_e32 v7, vcc, v4, v1, vcc
	v_mbcnt_hi_u32_b32 v1, -1, v43
	v_and_b32_e32 v0, 63, v0
	v_and_or_b32 v0, v1, 64, v0
	v_lshlrev_b32_e32 v12, 2, v0
	v_mad_u64_u32 v[0:1], s[0:1], v18, s28, 0
	v_mov_b32_e32 v2, v1
	v_mad_u64_u32 v[2:3], s[0:1], v18, s29, v[2:3]
	v_mov_b32_e32 v1, v2
	v_lshlrev_b64 v[4:5], 4, v[0:1]
	ds_bpermute_b32 v0, v12, v36
	ds_bpermute_b32 v1, v12, v37
	;; [unrolled: 1-line block ×4, first 2 shown]
	v_add_co_u32_e64 v6, s[0:1], v6, v4
	v_addc_co_u32_e64 v7, s[0:1], v7, v5, s[0:1]
	v_cmp_lt_u64_e32 vcc, v[18:19], v[14:15]
	v_cmp_lt_u64_e64 s[0:1], v[10:11], v[8:9]
	s_and_b64 s[0:1], vcc, s[0:1]
	s_and_saveexec_b64 s[2:3], s[0:1]
	s_cbranch_execz .LBB63_30
; %bb.29:
	v_mad_u64_u32 v[4:5], s[0:1], v10, s58, 0
	v_mov_b32_e32 v14, v5
	v_mad_u64_u32 v[14:15], s[0:1], v10, s59, v[14:15]
	v_mov_b32_e32 v5, v14
	v_lshlrev_b64 v[4:5], 4, v[4:5]
	v_add_co_u32_e64 v4, s[0:1], v6, v4
	v_addc_co_u32_e64 v5, s[0:1], v7, v5, s[0:1]
	global_load_dwordx4 v[14:17], v[4:5], off
	s_waitcnt lgkmcnt(0)
	v_mul_f64 v[18:19], s[20:21], v[2:3]
	v_mul_f64 v[2:3], s[18:19], v[2:3]
	v_fma_f64 v[18:19], s[18:19], v[0:1], -v[18:19]
	v_fmac_f64_e32 v[2:3], s[20:21], v[0:1]
	s_waitcnt vmcnt(0)
	v_mul_f64 v[0:1], s[52:53], v[16:17]
	v_mul_f64 v[16:17], s[50:51], v[16:17]
	v_fma_f64 v[0:1], s[50:51], v[14:15], -v[0:1]
	v_fmac_f64_e32 v[16:17], s[52:53], v[14:15]
	v_add_f64 v[0:1], v[18:19], v[0:1]
	v_add_f64 v[2:3], v[2:3], v[16:17]
	global_store_dwordx4 v[4:5], v[0:3], off
.LBB63_30:
	s_or_b64 exec, exec, s[2:3]
	s_waitcnt lgkmcnt(3)
	ds_bpermute_b32 v0, v12, v32
	s_waitcnt lgkmcnt(3)
	ds_bpermute_b32 v1, v12, v33
	;; [unrolled: 2-line block ×4, first 2 shown]
	v_or_b32_e32 v4, 4, v10
	v_mov_b32_e32 v5, v11
	v_cmp_lt_u64_e64 s[0:1], v[4:5], v[8:9]
	s_and_b64 s[0:1], vcc, s[0:1]
	s_and_saveexec_b64 s[2:3], s[0:1]
	s_cbranch_execz .LBB63_32
; %bb.31:
	v_mad_u64_u32 v[14:15], s[0:1], v4, s58, 0
	v_mov_b32_e32 v16, v15
	v_mad_u64_u32 v[4:5], s[0:1], v4, s59, v[16:17]
	v_mov_b32_e32 v15, v4
	v_lshlrev_b64 v[4:5], 4, v[14:15]
	v_add_co_u32_e64 v4, s[0:1], v6, v4
	v_addc_co_u32_e64 v5, s[0:1], v7, v5, s[0:1]
	global_load_dwordx4 v[14:17], v[4:5], off
	s_waitcnt lgkmcnt(0)
	v_mul_f64 v[18:19], s[20:21], v[2:3]
	v_mul_f64 v[2:3], s[18:19], v[2:3]
	v_fma_f64 v[18:19], s[18:19], v[0:1], -v[18:19]
	v_fmac_f64_e32 v[2:3], s[20:21], v[0:1]
	s_waitcnt vmcnt(0)
	v_mul_f64 v[0:1], s[52:53], v[16:17]
	v_mul_f64 v[16:17], s[50:51], v[16:17]
	v_fma_f64 v[0:1], s[50:51], v[14:15], -v[0:1]
	v_fmac_f64_e32 v[16:17], s[52:53], v[14:15]
	v_add_f64 v[0:1], v[18:19], v[0:1]
	v_add_f64 v[2:3], v[2:3], v[16:17]
	global_store_dwordx4 v[4:5], v[0:3], off
.LBB63_32:
	s_or_b64 exec, exec, s[2:3]
	s_waitcnt lgkmcnt(3)
	ds_bpermute_b32 v0, v12, v26
	s_waitcnt lgkmcnt(3)
	ds_bpermute_b32 v1, v12, v27
	;; [unrolled: 2-line block ×4, first 2 shown]
	v_or_b32_e32 v4, 8, v10
	v_mov_b32_e32 v5, v11
	v_cmp_lt_u64_e64 s[0:1], v[4:5], v[8:9]
	s_and_b64 s[0:1], vcc, s[0:1]
	s_and_saveexec_b64 s[2:3], s[0:1]
	s_cbranch_execz .LBB63_34
; %bb.33:
	v_mad_u64_u32 v[14:15], s[0:1], v4, s58, 0
	v_mov_b32_e32 v16, v15
	v_mad_u64_u32 v[4:5], s[0:1], v4, s59, v[16:17]
	v_mov_b32_e32 v15, v4
	v_lshlrev_b64 v[4:5], 4, v[14:15]
	v_add_co_u32_e64 v4, s[0:1], v6, v4
	v_addc_co_u32_e64 v5, s[0:1], v7, v5, s[0:1]
	global_load_dwordx4 v[14:17], v[4:5], off
	s_waitcnt lgkmcnt(0)
	v_mul_f64 v[18:19], s[20:21], v[2:3]
	v_mul_f64 v[2:3], s[18:19], v[2:3]
	v_fma_f64 v[18:19], s[18:19], v[0:1], -v[18:19]
	v_fmac_f64_e32 v[2:3], s[20:21], v[0:1]
	s_waitcnt vmcnt(0)
	v_mul_f64 v[0:1], s[52:53], v[16:17]
	v_mul_f64 v[16:17], s[50:51], v[16:17]
	v_fma_f64 v[0:1], s[50:51], v[14:15], -v[0:1]
	v_fmac_f64_e32 v[16:17], s[52:53], v[14:15]
	v_add_f64 v[0:1], v[18:19], v[0:1]
	v_add_f64 v[2:3], v[2:3], v[16:17]
	global_store_dwordx4 v[4:5], v[0:3], off
.LBB63_34:
	s_or_b64 exec, exec, s[2:3]
	s_waitcnt lgkmcnt(3)
	ds_bpermute_b32 v0, v12, v22
	s_waitcnt lgkmcnt(3)
	ds_bpermute_b32 v1, v12, v23
	s_waitcnt lgkmcnt(3)
	ds_bpermute_b32 v2, v12, v20
	s_waitcnt lgkmcnt(3)
	ds_bpermute_b32 v3, v12, v21
	v_or_b32_e32 v10, 12, v10
	v_cmp_lt_u64_e64 s[0:1], v[10:11], v[8:9]
	s_and_b64 s[0:1], vcc, s[0:1]
	s_and_b64 exec, exec, s[0:1]
	s_cbranch_execz .LBB63_36
; %bb.35:
	v_mad_u64_u32 v[4:5], s[0:1], v10, s58, 0
	v_mov_b32_e32 v8, v5
	v_mad_u64_u32 v[8:9], s[0:1], v10, s59, v[8:9]
	v_mov_b32_e32 v5, v8
	v_lshlrev_b64 v[4:5], 4, v[4:5]
	v_add_co_u32_e32 v8, vcc, v6, v4
	v_addc_co_u32_e32 v9, vcc, v7, v5, vcc
	global_load_dwordx4 v[4:7], v[8:9], off
	s_waitcnt lgkmcnt(0)
	v_mul_f64 v[10:11], s[20:21], v[2:3]
	v_mul_f64 v[2:3], s[18:19], v[2:3]
	v_fma_f64 v[10:11], s[18:19], v[0:1], -v[10:11]
	v_fmac_f64_e32 v[2:3], s[20:21], v[0:1]
	s_waitcnt vmcnt(0)
	v_mul_f64 v[0:1], s[52:53], v[6:7]
	v_mul_f64 v[6:7], s[50:51], v[6:7]
	v_fma_f64 v[0:1], s[50:51], v[4:5], -v[0:1]
	v_fmac_f64_e32 v[6:7], s[52:53], v[4:5]
	v_add_f64 v[0:1], v[10:11], v[0:1]
	v_add_f64 v[2:3], v[2:3], v[6:7]
	global_store_dwordx4 v[8:9], v[0:3], off
.LBB63_36:
	s_endpgm
	.section	.rodata,"a",@progbits
	.p2align	6, 0x0
	.amdhsa_kernel _ZN9rocsolver6v33100L16mfma_gemm_kernelI19rocblas_complex_numIdElS3_PS3_S4_PKS4_EEv18rocblas_operation_S7_T0_S8_S8_T1_T2_lS8_S8_lT3_lS8_S8_lS9_T4_lS8_S8_l
		.amdhsa_group_segment_fixed_size 0
		.amdhsa_private_segment_fixed_size 0
		.amdhsa_kernarg_size 440
		.amdhsa_user_sgpr_count 6
		.amdhsa_user_sgpr_private_segment_buffer 1
		.amdhsa_user_sgpr_dispatch_ptr 0
		.amdhsa_user_sgpr_queue_ptr 0
		.amdhsa_user_sgpr_kernarg_segment_ptr 1
		.amdhsa_user_sgpr_dispatch_id 0
		.amdhsa_user_sgpr_flat_scratch_init 0
		.amdhsa_user_sgpr_kernarg_preload_length 0
		.amdhsa_user_sgpr_kernarg_preload_offset 0
		.amdhsa_user_sgpr_private_segment_size 0
		.amdhsa_uses_dynamic_stack 0
		.amdhsa_system_sgpr_private_segment_wavefront_offset 0
		.amdhsa_system_sgpr_workgroup_id_x 1
		.amdhsa_system_sgpr_workgroup_id_y 1
		.amdhsa_system_sgpr_workgroup_id_z 1
		.amdhsa_system_sgpr_workgroup_info 0
		.amdhsa_system_vgpr_workitem_id 1
		.amdhsa_next_free_vgpr 70
		.amdhsa_next_free_sgpr 64
		.amdhsa_accum_offset 72
		.amdhsa_reserve_vcc 1
		.amdhsa_reserve_flat_scratch 0
		.amdhsa_float_round_mode_32 0
		.amdhsa_float_round_mode_16_64 0
		.amdhsa_float_denorm_mode_32 3
		.amdhsa_float_denorm_mode_16_64 3
		.amdhsa_dx10_clamp 1
		.amdhsa_ieee_mode 1
		.amdhsa_fp16_overflow 0
		.amdhsa_tg_split 0
		.amdhsa_exception_fp_ieee_invalid_op 0
		.amdhsa_exception_fp_denorm_src 0
		.amdhsa_exception_fp_ieee_div_zero 0
		.amdhsa_exception_fp_ieee_overflow 0
		.amdhsa_exception_fp_ieee_underflow 0
		.amdhsa_exception_fp_ieee_inexact 0
		.amdhsa_exception_int_div_zero 0
	.end_amdhsa_kernel
	.section	.text._ZN9rocsolver6v33100L16mfma_gemm_kernelI19rocblas_complex_numIdElS3_PS3_S4_PKS4_EEv18rocblas_operation_S7_T0_S8_S8_T1_T2_lS8_S8_lT3_lS8_S8_lS9_T4_lS8_S8_l,"axG",@progbits,_ZN9rocsolver6v33100L16mfma_gemm_kernelI19rocblas_complex_numIdElS3_PS3_S4_PKS4_EEv18rocblas_operation_S7_T0_S8_S8_T1_T2_lS8_S8_lT3_lS8_S8_lS9_T4_lS8_S8_l,comdat
.Lfunc_end63:
	.size	_ZN9rocsolver6v33100L16mfma_gemm_kernelI19rocblas_complex_numIdElS3_PS3_S4_PKS4_EEv18rocblas_operation_S7_T0_S8_S8_T1_T2_lS8_S8_lT3_lS8_S8_lS9_T4_lS8_S8_l, .Lfunc_end63-_ZN9rocsolver6v33100L16mfma_gemm_kernelI19rocblas_complex_numIdElS3_PS3_S4_PKS4_EEv18rocblas_operation_S7_T0_S8_S8_T1_T2_lS8_S8_lT3_lS8_S8_lS9_T4_lS8_S8_l
                                        ; -- End function
	.section	.AMDGPU.csdata,"",@progbits
; Kernel info:
; codeLenInByte = 3024
; NumSgprs: 68
; NumVgprs: 70
; NumAgprs: 0
; TotalNumVgprs: 70
; ScratchSize: 0
; MemoryBound: 1
; FloatMode: 240
; IeeeMode: 1
; LDSByteSize: 0 bytes/workgroup (compile time only)
; SGPRBlocks: 8
; VGPRBlocks: 8
; NumSGPRsForWavesPerEU: 68
; NumVGPRsForWavesPerEU: 70
; AccumOffset: 72
; Occupancy: 7
; WaveLimiterHint : 1
; COMPUTE_PGM_RSRC2:SCRATCH_EN: 0
; COMPUTE_PGM_RSRC2:USER_SGPR: 6
; COMPUTE_PGM_RSRC2:TRAP_HANDLER: 0
; COMPUTE_PGM_RSRC2:TGID_X_EN: 1
; COMPUTE_PGM_RSRC2:TGID_Y_EN: 1
; COMPUTE_PGM_RSRC2:TGID_Z_EN: 1
; COMPUTE_PGM_RSRC2:TIDIG_COMP_CNT: 1
; COMPUTE_PGM_RSRC3_GFX90A:ACCUM_OFFSET: 17
; COMPUTE_PGM_RSRC3_GFX90A:TG_SPLIT: 0
	.section	.text._ZN9rocsolver6v33100L11gemm_kernelI19rocblas_complex_numIdElPKS3_PS3_S6_PKS6_EEvT0_S9_S9_T1_bT2_lS9_S9_lbT3_lS9_S9_lSA_T4_lS9_S9_l,"axG",@progbits,_ZN9rocsolver6v33100L11gemm_kernelI19rocblas_complex_numIdElPKS3_PS3_S6_PKS6_EEvT0_S9_S9_T1_bT2_lS9_S9_lbT3_lS9_S9_lSA_T4_lS9_S9_l,comdat
	.globl	_ZN9rocsolver6v33100L11gemm_kernelI19rocblas_complex_numIdElPKS3_PS3_S6_PKS6_EEvT0_S9_S9_T1_bT2_lS9_S9_lbT3_lS9_S9_lSA_T4_lS9_S9_l ; -- Begin function _ZN9rocsolver6v33100L11gemm_kernelI19rocblas_complex_numIdElPKS3_PS3_S6_PKS6_EEvT0_S9_S9_T1_bT2_lS9_S9_lbT3_lS9_S9_lSA_T4_lS9_S9_l
	.p2align	8
	.type	_ZN9rocsolver6v33100L11gemm_kernelI19rocblas_complex_numIdElPKS3_PS3_S6_PKS6_EEvT0_S9_S9_T1_bT2_lS9_S9_lbT3_lS9_S9_lSA_T4_lS9_S9_l,@function
_ZN9rocsolver6v33100L11gemm_kernelI19rocblas_complex_numIdElPKS3_PS3_S6_PKS6_EEvT0_S9_S9_T1_bT2_lS9_S9_lbT3_lS9_S9_lSA_T4_lS9_S9_l: ; @_ZN9rocsolver6v33100L11gemm_kernelI19rocblas_complex_numIdElPKS3_PS3_S6_PKS6_EEvT0_S9_S9_T1_bT2_lS9_S9_lbT3_lS9_S9_lSA_T4_lS9_S9_l
; %bb.0:
	s_load_dword s0, s[4:5], 0xbc
	s_load_dwordx8 s[24:31], s[4:5], 0x0
	v_and_b32_e32 v4, 0x3ff, v0
	v_mov_b32_e32 v5, 0
	v_mov_b32_e32 v1, s6
	s_waitcnt lgkmcnt(0)
	s_lshr_b32 s2, s0, 16
	s_and_b32 s0, s0, 0xffff
	v_mad_u64_u32 v[2:3], s[0:1], s0, v1, v[4:5]
	v_bfe_u32 v4, v0, 10, 10
	v_mov_b32_e32 v0, s7
	v_mad_u64_u32 v[0:1], s[0:1], s2, v0, v[4:5]
	v_cmp_gt_i64_e32 vcc, s[24:25], v[2:3]
	v_cmp_gt_i64_e64 s[0:1], s[26:27], v[0:1]
	s_mov_b32 s9, 0
	s_and_b64 s[0:1], vcc, s[0:1]
	s_and_saveexec_b64 s[2:3], s[0:1]
	s_cbranch_execz .LBB64_5
; %bb.1:
	s_load_dwordx16 s[12:27], s[4:5], 0x58
	s_lshl_b64 s[0:1], s[8:9], 3
	v_cmp_lt_i64_e64 s[2:3], s[28:29], 1
	v_pk_mov_b32 v[4:5], 0, 0
	v_pk_mov_b32 v[6:7], v[4:5], v[4:5] op_sel:[0,1]
	s_waitcnt lgkmcnt(0)
	s_add_u32 s0, s24, s0
	s_addc_u32 s1, s25, s1
	s_load_dwordx2 s[6:7], s[0:1], 0x0
	s_and_b64 vcc, exec, s[2:3]
	s_cbranch_vccnz .LBB64_4
; %bb.2:
	s_load_dword s0, s[4:5], 0x20
	s_load_dword s1, s[4:5], 0x50
	s_load_dwordx2 s[2:3], s[4:5], 0x48
	s_load_dwordx8 s[36:43], s[4:5], 0x28
	s_waitcnt lgkmcnt(0)
	s_bitcmp1_b32 s0, 0
	s_cselect_b64 vcc, -1, 0
	s_bitcmp1_b32 s1, 0
	s_mul_i32 s3, s3, s8
	s_mul_hi_u32 s9, s2, s8
	s_cselect_b64 s[0:1], -1, 0
	v_mad_u64_u32 v[4:5], s[10:11], s40, v2, 0
	s_add_i32 s3, s9, s3
	s_mul_i32 s2, s2, s8
	s_lshl_b64 s[2:3], s[2:3], 4
	s_lshl_b64 s[10:11], s[38:39], 4
	s_add_u32 s9, s36, s10
	v_mul_lo_u32 v6, s41, v2
	v_mul_lo_u32 v7, s40, v3
	s_addc_u32 s10, s37, s11
	v_add3_u32 v5, v5, v7, v6
	s_add_u32 s2, s9, s2
	v_lshlrev_b64 v[4:5], 4, v[4:5]
	s_addc_u32 s3, s10, s3
	v_mov_b32_e32 v6, s3
	v_add_co_u32_e64 v4, s[2:3], s2, v4
	v_addc_co_u32_e64 v5, s[2:3], v6, v5, s[2:3]
	v_add_co_u32_e64 v8, s[2:3], 8, v4
	v_addc_co_u32_e64 v9, s[2:3], 0, v5, s[2:3]
	v_mad_u64_u32 v[4:5], s[2:3], s18, v0, 0
	s_mul_i32 s2, s21, s8
	s_mul_hi_u32 s3, s20, s8
	s_add_i32 s3, s3, s2
	s_mul_i32 s2, s20, s8
	s_lshl_b64 s[10:11], s[42:43], 4
	s_lshl_b64 s[2:3], s[2:3], 4
	;; [unrolled: 1-line block ×3, first 2 shown]
	s_add_u32 s8, s12, s8
	v_mul_lo_u32 v6, s19, v0
	v_mul_lo_u32 v7, s18, v1
	s_addc_u32 s9, s13, s9
	v_add3_u32 v5, v5, v7, v6
	s_add_u32 s2, s8, s2
	v_lshlrev_b64 v[4:5], 4, v[4:5]
	s_addc_u32 s3, s9, s3
	v_mov_b32_e32 v6, s3
	v_add_co_u32_e64 v4, s[2:3], s2, v4
	v_addc_co_u32_e64 v5, s[2:3], v6, v5, s[2:3]
	v_add_co_u32_e64 v10, s[2:3], 8, v4
	v_addc_co_u32_e64 v11, s[2:3], 0, v5, s[2:3]
	s_lshl_b64 s[8:9], s[16:17], 4
	v_pk_mov_b32 v[4:5], 0, 0
	v_mov_b32_e32 v12, s11
	v_mov_b32_e32 v13, s9
	v_pk_mov_b32 v[6:7], v[4:5], v[4:5] op_sel:[0,1]
.LBB64_3:                               ; =>This Inner Loop Header: Depth=1
	global_load_dwordx4 v[14:17], v[8:9], off offset:-8
	global_load_dwordx4 v[18:21], v[10:11], off offset:-8
	v_add_co_u32_e64 v8, s[2:3], s10, v8
	s_add_u32 s28, s28, -1
	v_addc_co_u32_e64 v9, s[2:3], v9, v12, s[2:3]
	v_add_co_u32_e64 v10, s[2:3], s8, v10
	s_addc_u32 s29, s29, -1
	v_addc_co_u32_e64 v11, s[2:3], v11, v13, s[2:3]
	s_cmp_eq_u64 s[28:29], 0
	s_waitcnt vmcnt(1)
	v_xor_b32_e32 v22, 0x80000000, v17
	s_waitcnt vmcnt(0)
	v_xor_b32_e32 v23, 0x80000000, v21
	v_cndmask_b32_e32 v17, v17, v22, vcc
	v_cndmask_b32_e64 v21, v21, v23, s[0:1]
	v_mul_f64 v[22:23], v[16:17], v[20:21]
	v_mul_f64 v[16:17], v[16:17], v[18:19]
	v_fma_f64 v[18:19], v[14:15], v[18:19], -v[22:23]
	v_fmac_f64_e32 v[16:17], v[14:15], v[20:21]
	v_add_f64 v[6:7], v[6:7], v[18:19]
	v_add_f64 v[4:5], v[4:5], v[16:17]
	s_cbranch_scc0 .LBB64_3
.LBB64_4:
	s_load_dwordx4 s[8:11], s[30:31], 0x0
	s_load_dwordx4 s[0:3], s[22:23], 0x0
                                        ; kill: killed $sgpr30_sgpr31
                                        ; kill: killed $sgpr22_sgpr23
	s_load_dwordx4 s[12:15], s[4:5], 0x98
	s_lshl_b64 s[4:5], s[26:27], 4
	s_waitcnt lgkmcnt(0)
	s_add_u32 s6, s6, s4
	s_addc_u32 s7, s7, s5
	v_mul_f64 v[10:11], s[10:11], v[4:5]
	v_mul_lo_u32 v8, v3, s12
	v_mul_lo_u32 v9, v2, s13
	v_mad_u64_u32 v[2:3], s[4:5], v2, s12, 0
	v_add3_u32 v3, v3, v9, v8
	v_mul_lo_u32 v8, v1, s14
	v_mul_lo_u32 v9, v0, s15
	v_mad_u64_u32 v[0:1], s[4:5], v0, s14, 0
	v_lshlrev_b64 v[2:3], 4, v[2:3]
	v_add3_u32 v1, v1, v9, v8
	v_mov_b32_e32 v8, s7
	v_add_co_u32_e32 v2, vcc, s6, v2
	v_addc_co_u32_e32 v3, vcc, v8, v3, vcc
	v_lshlrev_b64 v[0:1], 4, v[0:1]
	v_add_co_u32_e32 v8, vcc, v2, v0
	v_addc_co_u32_e32 v9, vcc, v3, v1, vcc
	global_load_dwordx4 v[0:3], v[8:9], off
	v_mul_f64 v[4:5], s[8:9], v[4:5]
	v_fma_f64 v[10:11], s[8:9], v[6:7], -v[10:11]
	v_fmac_f64_e32 v[4:5], s[10:11], v[6:7]
	s_waitcnt vmcnt(0)
	v_mul_f64 v[6:7], s[2:3], v[2:3]
	v_mul_f64 v[2:3], s[0:1], v[2:3]
	v_fma_f64 v[6:7], s[0:1], v[0:1], -v[6:7]
	v_fmac_f64_e32 v[2:3], s[2:3], v[0:1]
	v_add_f64 v[0:1], v[10:11], v[6:7]
	v_add_f64 v[2:3], v[4:5], v[2:3]
	global_store_dwordx4 v[8:9], v[0:3], off
.LBB64_5:
	s_endpgm
	.section	.rodata,"a",@progbits
	.p2align	6, 0x0
	.amdhsa_kernel _ZN9rocsolver6v33100L11gemm_kernelI19rocblas_complex_numIdElPKS3_PS3_S6_PKS6_EEvT0_S9_S9_T1_bT2_lS9_S9_lbT3_lS9_S9_lSA_T4_lS9_S9_l
		.amdhsa_group_segment_fixed_size 0
		.amdhsa_private_segment_fixed_size 0
		.amdhsa_kernarg_size 432
		.amdhsa_user_sgpr_count 6
		.amdhsa_user_sgpr_private_segment_buffer 1
		.amdhsa_user_sgpr_dispatch_ptr 0
		.amdhsa_user_sgpr_queue_ptr 0
		.amdhsa_user_sgpr_kernarg_segment_ptr 1
		.amdhsa_user_sgpr_dispatch_id 0
		.amdhsa_user_sgpr_flat_scratch_init 0
		.amdhsa_user_sgpr_kernarg_preload_length 0
		.amdhsa_user_sgpr_kernarg_preload_offset 0
		.amdhsa_user_sgpr_private_segment_size 0
		.amdhsa_uses_dynamic_stack 0
		.amdhsa_system_sgpr_private_segment_wavefront_offset 0
		.amdhsa_system_sgpr_workgroup_id_x 1
		.amdhsa_system_sgpr_workgroup_id_y 1
		.amdhsa_system_sgpr_workgroup_id_z 1
		.amdhsa_system_sgpr_workgroup_info 0
		.amdhsa_system_vgpr_workitem_id 1
		.amdhsa_next_free_vgpr 24
		.amdhsa_next_free_sgpr 44
		.amdhsa_accum_offset 24
		.amdhsa_reserve_vcc 1
		.amdhsa_reserve_flat_scratch 0
		.amdhsa_float_round_mode_32 0
		.amdhsa_float_round_mode_16_64 0
		.amdhsa_float_denorm_mode_32 3
		.amdhsa_float_denorm_mode_16_64 3
		.amdhsa_dx10_clamp 1
		.amdhsa_ieee_mode 1
		.amdhsa_fp16_overflow 0
		.amdhsa_tg_split 0
		.amdhsa_exception_fp_ieee_invalid_op 0
		.amdhsa_exception_fp_denorm_src 0
		.amdhsa_exception_fp_ieee_div_zero 0
		.amdhsa_exception_fp_ieee_overflow 0
		.amdhsa_exception_fp_ieee_underflow 0
		.amdhsa_exception_fp_ieee_inexact 0
		.amdhsa_exception_int_div_zero 0
	.end_amdhsa_kernel
	.section	.text._ZN9rocsolver6v33100L11gemm_kernelI19rocblas_complex_numIdElPKS3_PS3_S6_PKS6_EEvT0_S9_S9_T1_bT2_lS9_S9_lbT3_lS9_S9_lSA_T4_lS9_S9_l,"axG",@progbits,_ZN9rocsolver6v33100L11gemm_kernelI19rocblas_complex_numIdElPKS3_PS3_S6_PKS6_EEvT0_S9_S9_T1_bT2_lS9_S9_lbT3_lS9_S9_lSA_T4_lS9_S9_l,comdat
.Lfunc_end64:
	.size	_ZN9rocsolver6v33100L11gemm_kernelI19rocblas_complex_numIdElPKS3_PS3_S6_PKS6_EEvT0_S9_S9_T1_bT2_lS9_S9_lbT3_lS9_S9_lSA_T4_lS9_S9_l, .Lfunc_end64-_ZN9rocsolver6v33100L11gemm_kernelI19rocblas_complex_numIdElPKS3_PS3_S6_PKS6_EEvT0_S9_S9_T1_bT2_lS9_S9_lbT3_lS9_S9_lSA_T4_lS9_S9_l
                                        ; -- End function
	.section	.AMDGPU.csdata,"",@progbits
; Kernel info:
; codeLenInByte = 864
; NumSgprs: 48
; NumVgprs: 24
; NumAgprs: 0
; TotalNumVgprs: 24
; ScratchSize: 0
; MemoryBound: 0
; FloatMode: 240
; IeeeMode: 1
; LDSByteSize: 0 bytes/workgroup (compile time only)
; SGPRBlocks: 5
; VGPRBlocks: 2
; NumSGPRsForWavesPerEU: 48
; NumVGPRsForWavesPerEU: 24
; AccumOffset: 24
; Occupancy: 8
; WaveLimiterHint : 1
; COMPUTE_PGM_RSRC2:SCRATCH_EN: 0
; COMPUTE_PGM_RSRC2:USER_SGPR: 6
; COMPUTE_PGM_RSRC2:TRAP_HANDLER: 0
; COMPUTE_PGM_RSRC2:TGID_X_EN: 1
; COMPUTE_PGM_RSRC2:TGID_Y_EN: 1
; COMPUTE_PGM_RSRC2:TGID_Z_EN: 1
; COMPUTE_PGM_RSRC2:TIDIG_COMP_CNT: 1
; COMPUTE_PGM_RSRC3_GFX90A:ACCUM_OFFSET: 5
; COMPUTE_PGM_RSRC3_GFX90A:TG_SPLIT: 0
	.section	.text._ZN9rocsolver6v33100L11gemm_kernelI19rocblas_complex_numIdElS3_PS3_S4_PKS4_EEvT0_S7_S7_T1_bT2_lS7_S7_lbT3_lS7_S7_lS8_T4_lS7_S7_l,"axG",@progbits,_ZN9rocsolver6v33100L11gemm_kernelI19rocblas_complex_numIdElS3_PS3_S4_PKS4_EEvT0_S7_S7_T1_bT2_lS7_S7_lbT3_lS7_S7_lS8_T4_lS7_S7_l,comdat
	.globl	_ZN9rocsolver6v33100L11gemm_kernelI19rocblas_complex_numIdElS3_PS3_S4_PKS4_EEvT0_S7_S7_T1_bT2_lS7_S7_lbT3_lS7_S7_lS8_T4_lS7_S7_l ; -- Begin function _ZN9rocsolver6v33100L11gemm_kernelI19rocblas_complex_numIdElS3_PS3_S4_PKS4_EEvT0_S7_S7_T1_bT2_lS7_S7_lbT3_lS7_S7_lS8_T4_lS7_S7_l
	.p2align	8
	.type	_ZN9rocsolver6v33100L11gemm_kernelI19rocblas_complex_numIdElS3_PS3_S4_PKS4_EEvT0_S7_S7_T1_bT2_lS7_S7_lbT3_lS7_S7_lS8_T4_lS7_S7_l,@function
_ZN9rocsolver6v33100L11gemm_kernelI19rocblas_complex_numIdElS3_PS3_S4_PKS4_EEvT0_S7_S7_T1_bT2_lS7_S7_lbT3_lS7_S7_lS8_T4_lS7_S7_l: ; @_ZN9rocsolver6v33100L11gemm_kernelI19rocblas_complex_numIdElS3_PS3_S4_PKS4_EEvT0_S7_S7_T1_bT2_lS7_S7_lbT3_lS7_S7_lS8_T4_lS7_S7_l
; %bb.0:
	s_load_dword s0, s[4:5], 0xcc
	s_load_dwordx8 s[24:31], s[4:5], 0x0
	v_and_b32_e32 v4, 0x3ff, v0
	v_mov_b32_e32 v5, 0
	v_mov_b32_e32 v1, s6
	s_waitcnt lgkmcnt(0)
	s_lshr_b32 s2, s0, 16
	s_and_b32 s0, s0, 0xffff
	v_mad_u64_u32 v[2:3], s[0:1], s0, v1, v[4:5]
	v_bfe_u32 v4, v0, 10, 10
	v_mov_b32_e32 v0, s7
	v_mad_u64_u32 v[0:1], s[0:1], s2, v0, v[4:5]
	v_cmp_gt_i64_e32 vcc, s[24:25], v[2:3]
	v_cmp_gt_i64_e64 s[0:1], s[26:27], v[0:1]
	s_mov_b32 s9, 0
	s_and_b64 s[0:1], vcc, s[0:1]
	s_and_saveexec_b64 s[2:3], s[0:1]
	s_cbranch_execz .LBB65_5
; %bb.1:
	s_load_dwordx16 s[12:27], s[4:5], 0x60
	s_load_dwordx2 s[6:7], s[4:5], 0x20
	s_lshl_b64 s[0:1], s[8:9], 3
	v_cmp_lt_i64_e64 s[2:3], s[28:29], 1
	v_pk_mov_b32 v[4:5], 0, 0
	s_waitcnt lgkmcnt(0)
	s_add_u32 s0, s26, s0
	s_addc_u32 s1, s27, s1
	s_load_dwordx2 s[10:11], s[0:1], 0x0
	s_and_b64 vcc, exec, s[2:3]
	v_pk_mov_b32 v[6:7], v[4:5], v[4:5] op_sel:[0,1]
	s_cbranch_vccnz .LBB65_4
; %bb.2:
	s_load_dword s0, s[4:5], 0x28
	s_load_dword s1, s[4:5], 0x58
	s_load_dwordx2 s[2:3], s[4:5], 0x50
	s_load_dwordx8 s[36:43], s[4:5], 0x30
	s_waitcnt lgkmcnt(0)
	s_bitcmp1_b32 s0, 0
	s_cselect_b64 vcc, -1, 0
	s_bitcmp1_b32 s1, 0
	s_mul_i32 s3, s3, s8
	s_mul_hi_u32 s9, s2, s8
	s_cselect_b64 s[0:1], -1, 0
	v_mad_u64_u32 v[4:5], s[26:27], s40, v2, 0
	s_add_i32 s3, s9, s3
	s_mul_i32 s2, s2, s8
	s_lshl_b64 s[2:3], s[2:3], 4
	s_lshl_b64 s[26:27], s[38:39], 4
	s_add_u32 s9, s36, s26
	v_mul_lo_u32 v6, s41, v2
	v_mul_lo_u32 v7, s40, v3
	s_addc_u32 s26, s37, s27
	v_add3_u32 v5, v5, v7, v6
	s_add_u32 s2, s9, s2
	v_lshlrev_b64 v[4:5], 4, v[4:5]
	s_addc_u32 s3, s26, s3
	v_mov_b32_e32 v6, s3
	v_add_co_u32_e64 v4, s[2:3], s2, v4
	v_addc_co_u32_e64 v5, s[2:3], v6, v5, s[2:3]
	v_add_co_u32_e64 v8, s[2:3], 8, v4
	v_addc_co_u32_e64 v9, s[2:3], 0, v5, s[2:3]
	v_mad_u64_u32 v[4:5], s[2:3], s18, v0, 0
	s_mul_i32 s2, s21, s8
	s_mul_hi_u32 s3, s20, s8
	s_add_i32 s3, s3, s2
	s_mul_i32 s2, s20, s8
	s_lshl_b64 s[26:27], s[42:43], 4
	s_lshl_b64 s[2:3], s[2:3], 4
	;; [unrolled: 1-line block ×3, first 2 shown]
	s_add_u32 s8, s12, s8
	v_mul_lo_u32 v6, s19, v0
	v_mul_lo_u32 v7, s18, v1
	s_addc_u32 s9, s13, s9
	v_add3_u32 v5, v5, v7, v6
	s_add_u32 s2, s8, s2
	v_lshlrev_b64 v[4:5], 4, v[4:5]
	s_addc_u32 s3, s9, s3
	v_mov_b32_e32 v6, s3
	v_add_co_u32_e64 v4, s[2:3], s2, v4
	v_addc_co_u32_e64 v5, s[2:3], v6, v5, s[2:3]
	v_add_co_u32_e64 v10, s[2:3], 8, v4
	v_addc_co_u32_e64 v11, s[2:3], 0, v5, s[2:3]
	s_lshl_b64 s[8:9], s[16:17], 4
	v_pk_mov_b32 v[4:5], 0, 0
	v_mov_b32_e32 v12, s27
	v_mov_b32_e32 v13, s9
	v_pk_mov_b32 v[6:7], v[4:5], v[4:5] op_sel:[0,1]
.LBB65_3:                               ; =>This Inner Loop Header: Depth=1
	global_load_dwordx4 v[14:17], v[8:9], off offset:-8
	global_load_dwordx4 v[18:21], v[10:11], off offset:-8
	v_add_co_u32_e64 v8, s[2:3], s26, v8
	s_add_u32 s28, s28, -1
	v_addc_co_u32_e64 v9, s[2:3], v9, v12, s[2:3]
	v_add_co_u32_e64 v10, s[2:3], s8, v10
	s_addc_u32 s29, s29, -1
	v_addc_co_u32_e64 v11, s[2:3], v11, v13, s[2:3]
	s_cmp_eq_u64 s[28:29], 0
	s_waitcnt vmcnt(1)
	v_xor_b32_e32 v22, 0x80000000, v17
	s_waitcnt vmcnt(0)
	v_xor_b32_e32 v23, 0x80000000, v21
	v_cndmask_b32_e32 v17, v17, v22, vcc
	v_cndmask_b32_e64 v21, v21, v23, s[0:1]
	v_mul_f64 v[22:23], v[16:17], v[20:21]
	v_mul_f64 v[16:17], v[16:17], v[18:19]
	v_fma_f64 v[18:19], v[14:15], v[18:19], -v[22:23]
	v_fmac_f64_e32 v[16:17], v[14:15], v[20:21]
	v_add_f64 v[6:7], v[6:7], v[18:19]
	v_add_f64 v[4:5], v[4:5], v[16:17]
	s_cbranch_scc0 .LBB65_3
.LBB65_4:
	s_load_dwordx4 s[0:3], s[4:5], 0xa0
	s_load_dwordx2 s[8:9], s[4:5], 0xb0
	v_mul_f64 v[10:11], s[6:7], v[4:5]
	v_mul_f64 v[4:5], s[30:31], v[4:5]
	v_fma_f64 v[10:11], s[30:31], v[6:7], -v[10:11]
	s_waitcnt lgkmcnt(0)
	s_lshl_b64 s[0:1], s[0:1], 4
	v_mul_lo_u32 v9, v2, s3
	s_add_u32 s3, s10, s0
	v_mul_lo_u32 v8, v3, s2
	s_addc_u32 s4, s11, s1
	v_mad_u64_u32 v[2:3], s[0:1], v2, s2, 0
	v_add3_u32 v3, v3, v9, v8
	v_mul_lo_u32 v8, v1, s8
	v_mul_lo_u32 v9, v0, s9
	v_mad_u64_u32 v[0:1], s[0:1], v0, s8, 0
	v_lshlrev_b64 v[2:3], 4, v[2:3]
	v_add3_u32 v1, v1, v9, v8
	v_mov_b32_e32 v8, s4
	v_add_co_u32_e32 v2, vcc, s3, v2
	v_addc_co_u32_e32 v3, vcc, v8, v3, vcc
	v_lshlrev_b64 v[0:1], 4, v[0:1]
	v_add_co_u32_e32 v8, vcc, v2, v0
	v_addc_co_u32_e32 v9, vcc, v3, v1, vcc
	global_load_dwordx4 v[0:3], v[8:9], off
	v_fmac_f64_e32 v[4:5], s[6:7], v[6:7]
	s_waitcnt vmcnt(0)
	v_mul_f64 v[6:7], s[24:25], v[2:3]
	v_mul_f64 v[2:3], s[22:23], v[2:3]
	v_fma_f64 v[6:7], s[22:23], v[0:1], -v[6:7]
	v_fmac_f64_e32 v[2:3], s[24:25], v[0:1]
	v_add_f64 v[0:1], v[10:11], v[6:7]
	v_add_f64 v[2:3], v[4:5], v[2:3]
	global_store_dwordx4 v[8:9], v[0:3], off
.LBB65_5:
	s_endpgm
	.section	.rodata,"a",@progbits
	.p2align	6, 0x0
	.amdhsa_kernel _ZN9rocsolver6v33100L11gemm_kernelI19rocblas_complex_numIdElS3_PS3_S4_PKS4_EEvT0_S7_S7_T1_bT2_lS7_S7_lbT3_lS7_S7_lS8_T4_lS7_S7_l
		.amdhsa_group_segment_fixed_size 0
		.amdhsa_private_segment_fixed_size 0
		.amdhsa_kernarg_size 448
		.amdhsa_user_sgpr_count 6
		.amdhsa_user_sgpr_private_segment_buffer 1
		.amdhsa_user_sgpr_dispatch_ptr 0
		.amdhsa_user_sgpr_queue_ptr 0
		.amdhsa_user_sgpr_kernarg_segment_ptr 1
		.amdhsa_user_sgpr_dispatch_id 0
		.amdhsa_user_sgpr_flat_scratch_init 0
		.amdhsa_user_sgpr_kernarg_preload_length 0
		.amdhsa_user_sgpr_kernarg_preload_offset 0
		.amdhsa_user_sgpr_private_segment_size 0
		.amdhsa_uses_dynamic_stack 0
		.amdhsa_system_sgpr_private_segment_wavefront_offset 0
		.amdhsa_system_sgpr_workgroup_id_x 1
		.amdhsa_system_sgpr_workgroup_id_y 1
		.amdhsa_system_sgpr_workgroup_id_z 1
		.amdhsa_system_sgpr_workgroup_info 0
		.amdhsa_system_vgpr_workitem_id 1
		.amdhsa_next_free_vgpr 24
		.amdhsa_next_free_sgpr 44
		.amdhsa_accum_offset 24
		.amdhsa_reserve_vcc 1
		.amdhsa_reserve_flat_scratch 0
		.amdhsa_float_round_mode_32 0
		.amdhsa_float_round_mode_16_64 0
		.amdhsa_float_denorm_mode_32 3
		.amdhsa_float_denorm_mode_16_64 3
		.amdhsa_dx10_clamp 1
		.amdhsa_ieee_mode 1
		.amdhsa_fp16_overflow 0
		.amdhsa_tg_split 0
		.amdhsa_exception_fp_ieee_invalid_op 0
		.amdhsa_exception_fp_denorm_src 0
		.amdhsa_exception_fp_ieee_div_zero 0
		.amdhsa_exception_fp_ieee_overflow 0
		.amdhsa_exception_fp_ieee_underflow 0
		.amdhsa_exception_fp_ieee_inexact 0
		.amdhsa_exception_int_div_zero 0
	.end_amdhsa_kernel
	.section	.text._ZN9rocsolver6v33100L11gemm_kernelI19rocblas_complex_numIdElS3_PS3_S4_PKS4_EEvT0_S7_S7_T1_bT2_lS7_S7_lbT3_lS7_S7_lS8_T4_lS7_S7_l,"axG",@progbits,_ZN9rocsolver6v33100L11gemm_kernelI19rocblas_complex_numIdElS3_PS3_S4_PKS4_EEvT0_S7_S7_T1_bT2_lS7_S7_lbT3_lS7_S7_lS8_T4_lS7_S7_l,comdat
.Lfunc_end65:
	.size	_ZN9rocsolver6v33100L11gemm_kernelI19rocblas_complex_numIdElS3_PS3_S4_PKS4_EEvT0_S7_S7_T1_bT2_lS7_S7_lbT3_lS7_S7_lS8_T4_lS7_S7_l, .Lfunc_end65-_ZN9rocsolver6v33100L11gemm_kernelI19rocblas_complex_numIdElS3_PS3_S4_PKS4_EEvT0_S7_S7_T1_bT2_lS7_S7_lbT3_lS7_S7_lS8_T4_lS7_S7_l
                                        ; -- End function
	.section	.AMDGPU.csdata,"",@progbits
; Kernel info:
; codeLenInByte = 864
; NumSgprs: 48
; NumVgprs: 24
; NumAgprs: 0
; TotalNumVgprs: 24
; ScratchSize: 0
; MemoryBound: 0
; FloatMode: 240
; IeeeMode: 1
; LDSByteSize: 0 bytes/workgroup (compile time only)
; SGPRBlocks: 5
; VGPRBlocks: 2
; NumSGPRsForWavesPerEU: 48
; NumVGPRsForWavesPerEU: 24
; AccumOffset: 24
; Occupancy: 8
; WaveLimiterHint : 1
; COMPUTE_PGM_RSRC2:SCRATCH_EN: 0
; COMPUTE_PGM_RSRC2:USER_SGPR: 6
; COMPUTE_PGM_RSRC2:TRAP_HANDLER: 0
; COMPUTE_PGM_RSRC2:TGID_X_EN: 1
; COMPUTE_PGM_RSRC2:TGID_Y_EN: 1
; COMPUTE_PGM_RSRC2:TGID_Z_EN: 1
; COMPUTE_PGM_RSRC2:TIDIG_COMP_CNT: 1
; COMPUTE_PGM_RSRC3_GFX90A:ACCUM_OFFSET: 5
; COMPUTE_PGM_RSRC3_GFX90A:TG_SPLIT: 0
	.text
	.p2alignl 6, 3212836864
	.fill 256, 4, 3212836864
	.type	__hip_cuid_1fd1eb70f199e39,@object ; @__hip_cuid_1fd1eb70f199e39
	.section	.bss,"aw",@nobits
	.globl	__hip_cuid_1fd1eb70f199e39
__hip_cuid_1fd1eb70f199e39:
	.byte	0                               ; 0x0
	.size	__hip_cuid_1fd1eb70f199e39, 1

	.ident	"AMD clang version 19.0.0git (https://github.com/RadeonOpenCompute/llvm-project roc-6.4.0 25133 c7fe45cf4b819c5991fe208aaa96edf142730f1d)"
	.section	".note.GNU-stack","",@progbits
	.addrsig
	.addrsig_sym __hip_cuid_1fd1eb70f199e39
	.amdgpu_metadata
---
amdhsa.kernels:
  - .agpr_count:     0
    .args:
      - .offset:         0
        .size:           4
        .value_kind:     by_value
      - .offset:         4
        .size:           4
        .value_kind:     by_value
      - .offset:         8
        .size:           4
        .value_kind:     by_value
      - .offset:         12
        .size:           4
        .value_kind:     by_value
      - .offset:         16
        .size:           4
        .value_kind:     by_value
      - .address_space:  global
        .offset:         24
        .size:           8
        .value_kind:     global_buffer
      - .address_space:  global
        .offset:         32
        .size:           8
        .value_kind:     global_buffer
      - .offset:         40
        .size:           8
        .value_kind:     by_value
      - .offset:         48
        .size:           4
        .value_kind:     by_value
      - .offset:         52
        .size:           4
        .value_kind:     by_value
      - .offset:         56
        .size:           8
        .value_kind:     by_value
      - .address_space:  global
        .offset:         64
        .size:           8
        .value_kind:     global_buffer
      - .offset:         72
        .size:           8
        .value_kind:     by_value
      - .offset:         80
        .size:           4
        .value_kind:     by_value
      - .offset:         84
        .size:           4
        .value_kind:     by_value
      - .offset:         88
        .size:           8
        .value_kind:     by_value
      - .address_space:  global
        .offset:         96
        .size:           8
        .value_kind:     global_buffer
      - .address_space:  global
        .offset:         104
        .size:           8
        .value_kind:     global_buffer
      - .offset:         112
        .size:           8
        .value_kind:     by_value
      - .offset:         120
        .size:           4
        .value_kind:     by_value
      - .offset:         124
        .size:           4
        .value_kind:     by_value
      - .offset:         128
        .size:           8
        .value_kind:     by_value
      - .offset:         136
        .size:           4
        .value_kind:     hidden_block_count_x
      - .offset:         140
        .size:           4
        .value_kind:     hidden_block_count_y
      - .offset:         144
        .size:           4
        .value_kind:     hidden_block_count_z
      - .offset:         148
        .size:           2
        .value_kind:     hidden_group_size_x
      - .offset:         150
        .size:           2
        .value_kind:     hidden_group_size_y
      - .offset:         152
        .size:           2
        .value_kind:     hidden_group_size_z
      - .offset:         154
        .size:           2
        .value_kind:     hidden_remainder_x
      - .offset:         156
        .size:           2
        .value_kind:     hidden_remainder_y
      - .offset:         158
        .size:           2
        .value_kind:     hidden_remainder_z
      - .offset:         176
        .size:           8
        .value_kind:     hidden_global_offset_x
      - .offset:         184
        .size:           8
        .value_kind:     hidden_global_offset_y
      - .offset:         192
        .size:           8
        .value_kind:     hidden_global_offset_z
      - .offset:         200
        .size:           2
        .value_kind:     hidden_grid_dims
    .group_segment_fixed_size: 0
    .kernarg_segment_align: 8
    .kernarg_segment_size: 392
    .language:       OpenCL C
    .language_version:
      - 2
      - 0
    .max_flat_workgroup_size: 1024
    .name:           _ZN9rocsolver6v33100L16mfma_gemm_kernelI19rocblas_complex_numIdEiPKS3_PS3_S6_S6_EEv18rocblas_operation_S7_T0_S8_S8_T1_T2_lS8_S8_lT3_lS8_S8_lS9_T4_lS8_S8_l
    .private_segment_fixed_size: 0
    .sgpr_count:     52
    .sgpr_spill_count: 0
    .symbol:         _ZN9rocsolver6v33100L16mfma_gemm_kernelI19rocblas_complex_numIdEiPKS3_PS3_S6_S6_EEv18rocblas_operation_S7_T0_S8_S8_T1_T2_lS8_S8_lT3_lS8_S8_lS9_T4_lS8_S8_l.kd
    .uniform_work_group_size: 1
    .uses_dynamic_stack: false
    .vgpr_count:     62
    .vgpr_spill_count: 0
    .wavefront_size: 64
  - .agpr_count:     0
    .args:
      - .offset:         0
        .size:           4
        .value_kind:     by_value
      - .offset:         4
        .size:           4
        .value_kind:     by_value
      - .offset:         8
        .size:           4
        .value_kind:     by_value
      - .offset:         12
        .size:           4
        .value_kind:     by_value
      - .offset:         16
        .size:           4
        .value_kind:     by_value
      - .offset:         24
        .size:           16
        .value_kind:     by_value
      - .address_space:  global
        .offset:         40
        .size:           8
        .value_kind:     global_buffer
      - .offset:         48
        .size:           8
        .value_kind:     by_value
      - .offset:         56
        .size:           4
        .value_kind:     by_value
      - .offset:         60
        .size:           4
        .value_kind:     by_value
      - .offset:         64
        .size:           8
        .value_kind:     by_value
      - .address_space:  global
        .offset:         72
        .size:           8
        .value_kind:     global_buffer
      - .offset:         80
        .size:           8
        .value_kind:     by_value
      - .offset:         88
        .size:           4
        .value_kind:     by_value
      - .offset:         92
        .size:           4
        .value_kind:     by_value
      - .offset:         96
        .size:           8
        .value_kind:     by_value
      - .offset:         104
        .size:           16
        .value_kind:     by_value
      - .address_space:  global
        .offset:         120
        .size:           8
        .value_kind:     global_buffer
      - .offset:         128
        .size:           8
        .value_kind:     by_value
      - .offset:         136
        .size:           4
        .value_kind:     by_value
      - .offset:         140
        .size:           4
        .value_kind:     by_value
      - .offset:         144
        .size:           8
        .value_kind:     by_value
      - .offset:         152
        .size:           4
        .value_kind:     hidden_block_count_x
      - .offset:         156
        .size:           4
        .value_kind:     hidden_block_count_y
      - .offset:         160
        .size:           4
        .value_kind:     hidden_block_count_z
      - .offset:         164
        .size:           2
        .value_kind:     hidden_group_size_x
      - .offset:         166
        .size:           2
        .value_kind:     hidden_group_size_y
      - .offset:         168
        .size:           2
        .value_kind:     hidden_group_size_z
      - .offset:         170
        .size:           2
        .value_kind:     hidden_remainder_x
      - .offset:         172
        .size:           2
        .value_kind:     hidden_remainder_y
      - .offset:         174
        .size:           2
        .value_kind:     hidden_remainder_z
      - .offset:         192
        .size:           8
        .value_kind:     hidden_global_offset_x
      - .offset:         200
        .size:           8
        .value_kind:     hidden_global_offset_y
      - .offset:         208
        .size:           8
        .value_kind:     hidden_global_offset_z
      - .offset:         216
        .size:           2
        .value_kind:     hidden_grid_dims
    .group_segment_fixed_size: 0
    .kernarg_segment_align: 8
    .kernarg_segment_size: 408
    .language:       OpenCL C
    .language_version:
      - 2
      - 0
    .max_flat_workgroup_size: 1024
    .name:           _ZN9rocsolver6v33100L16mfma_gemm_kernelI19rocblas_complex_numIdEiS3_PS3_S4_S4_EEv18rocblas_operation_S5_T0_S6_S6_T1_T2_lS6_S6_lT3_lS6_S6_lS7_T4_lS6_S6_l
    .private_segment_fixed_size: 0
    .sgpr_count:     50
    .sgpr_spill_count: 0
    .symbol:         _ZN9rocsolver6v33100L16mfma_gemm_kernelI19rocblas_complex_numIdEiS3_PS3_S4_S4_EEv18rocblas_operation_S5_T0_S6_S6_T1_T2_lS6_S6_lT3_lS6_S6_lS7_T4_lS6_S6_l.kd
    .uniform_work_group_size: 1
    .uses_dynamic_stack: false
    .vgpr_count:     62
    .vgpr_spill_count: 0
    .wavefront_size: 64
  - .agpr_count:     0
    .args:
      - .offset:         0
        .size:           4
        .value_kind:     by_value
      - .offset:         4
        .size:           4
        .value_kind:     by_value
      - .offset:         8
        .size:           4
        .value_kind:     by_value
      - .address_space:  global
        .offset:         16
        .size:           8
        .value_kind:     global_buffer
      - .offset:         24
        .size:           1
        .value_kind:     by_value
      - .address_space:  global
        .offset:         32
        .size:           8
        .value_kind:     global_buffer
      - .offset:         40
        .size:           8
        .value_kind:     by_value
      - .offset:         48
        .size:           4
        .value_kind:     by_value
      - .offset:         52
        .size:           4
        .value_kind:     by_value
      - .offset:         56
        .size:           8
        .value_kind:     by_value
      - .offset:         64
        .size:           1
        .value_kind:     by_value
      - .address_space:  global
        .offset:         72
        .size:           8
        .value_kind:     global_buffer
      - .offset:         80
        .size:           8
        .value_kind:     by_value
      - .offset:         88
        .size:           4
        .value_kind:     by_value
      - .offset:         92
        .size:           4
        .value_kind:     by_value
      - .offset:         96
        .size:           8
        .value_kind:     by_value
      - .address_space:  global
        .offset:         104
        .size:           8
        .value_kind:     global_buffer
      - .address_space:  global
        .offset:         112
        .size:           8
        .value_kind:     global_buffer
      - .offset:         120
        .size:           8
        .value_kind:     by_value
      - .offset:         128
        .size:           4
        .value_kind:     by_value
      - .offset:         132
        .size:           4
        .value_kind:     by_value
      - .offset:         136
        .size:           8
        .value_kind:     by_value
      - .offset:         144
        .size:           4
        .value_kind:     hidden_block_count_x
      - .offset:         148
        .size:           4
        .value_kind:     hidden_block_count_y
      - .offset:         152
        .size:           4
        .value_kind:     hidden_block_count_z
      - .offset:         156
        .size:           2
        .value_kind:     hidden_group_size_x
      - .offset:         158
        .size:           2
        .value_kind:     hidden_group_size_y
      - .offset:         160
        .size:           2
        .value_kind:     hidden_group_size_z
      - .offset:         162
        .size:           2
        .value_kind:     hidden_remainder_x
      - .offset:         164
        .size:           2
        .value_kind:     hidden_remainder_y
      - .offset:         166
        .size:           2
        .value_kind:     hidden_remainder_z
      - .offset:         184
        .size:           8
        .value_kind:     hidden_global_offset_x
      - .offset:         192
        .size:           8
        .value_kind:     hidden_global_offset_y
      - .offset:         200
        .size:           8
        .value_kind:     hidden_global_offset_z
      - .offset:         208
        .size:           2
        .value_kind:     hidden_grid_dims
    .group_segment_fixed_size: 0
    .kernarg_segment_align: 8
    .kernarg_segment_size: 400
    .language:       OpenCL C
    .language_version:
      - 2
      - 0
    .max_flat_workgroup_size: 1024
    .name:           _ZN9rocsolver6v33100L11gemm_kernelI19rocblas_complex_numIdEiPKS3_PS3_S6_S6_EEvT0_S7_S7_T1_bT2_lS7_S7_lbT3_lS7_S7_lS8_T4_lS7_S7_l
    .private_segment_fixed_size: 0
    .sgpr_count:     44
    .sgpr_spill_count: 0
    .symbol:         _ZN9rocsolver6v33100L11gemm_kernelI19rocblas_complex_numIdEiPKS3_PS3_S6_S6_EEvT0_S7_S7_T1_bT2_lS7_S7_lbT3_lS7_S7_lS8_T4_lS7_S7_l.kd
    .uniform_work_group_size: 1
    .uses_dynamic_stack: false
    .vgpr_count:     22
    .vgpr_spill_count: 0
    .wavefront_size: 64
  - .agpr_count:     0
    .args:
      - .offset:         0
        .size:           4
        .value_kind:     by_value
      - .offset:         4
        .size:           4
        .value_kind:     by_value
      - .offset:         8
        .size:           4
        .value_kind:     by_value
      - .offset:         16
        .size:           16
        .value_kind:     by_value
      - .offset:         32
        .size:           1
        .value_kind:     by_value
      - .address_space:  global
        .offset:         40
        .size:           8
        .value_kind:     global_buffer
      - .offset:         48
        .size:           8
        .value_kind:     by_value
      - .offset:         56
        .size:           4
        .value_kind:     by_value
      - .offset:         60
        .size:           4
        .value_kind:     by_value
      - .offset:         64
        .size:           8
        .value_kind:     by_value
      - .offset:         72
        .size:           1
        .value_kind:     by_value
      - .address_space:  global
        .offset:         80
        .size:           8
        .value_kind:     global_buffer
      - .offset:         88
        .size:           8
        .value_kind:     by_value
      - .offset:         96
        .size:           4
        .value_kind:     by_value
      - .offset:         100
        .size:           4
        .value_kind:     by_value
      - .offset:         104
        .size:           8
        .value_kind:     by_value
      - .offset:         112
        .size:           16
        .value_kind:     by_value
      - .address_space:  global
        .offset:         128
        .size:           8
        .value_kind:     global_buffer
      - .offset:         136
        .size:           8
        .value_kind:     by_value
      - .offset:         144
        .size:           4
        .value_kind:     by_value
      - .offset:         148
        .size:           4
        .value_kind:     by_value
      - .offset:         152
        .size:           8
        .value_kind:     by_value
      - .offset:         160
        .size:           4
        .value_kind:     hidden_block_count_x
      - .offset:         164
        .size:           4
        .value_kind:     hidden_block_count_y
      - .offset:         168
        .size:           4
        .value_kind:     hidden_block_count_z
      - .offset:         172
        .size:           2
        .value_kind:     hidden_group_size_x
      - .offset:         174
        .size:           2
        .value_kind:     hidden_group_size_y
      - .offset:         176
        .size:           2
        .value_kind:     hidden_group_size_z
      - .offset:         178
        .size:           2
        .value_kind:     hidden_remainder_x
      - .offset:         180
        .size:           2
        .value_kind:     hidden_remainder_y
      - .offset:         182
        .size:           2
        .value_kind:     hidden_remainder_z
      - .offset:         200
        .size:           8
        .value_kind:     hidden_global_offset_x
      - .offset:         208
        .size:           8
        .value_kind:     hidden_global_offset_y
      - .offset:         216
        .size:           8
        .value_kind:     hidden_global_offset_z
      - .offset:         224
        .size:           2
        .value_kind:     hidden_grid_dims
    .group_segment_fixed_size: 0
    .kernarg_segment_align: 8
    .kernarg_segment_size: 416
    .language:       OpenCL C
    .language_version:
      - 2
      - 0
    .max_flat_workgroup_size: 1024
    .name:           _ZN9rocsolver6v33100L11gemm_kernelI19rocblas_complex_numIdEiS3_PS3_S4_S4_EEvT0_S5_S5_T1_bT2_lS5_S5_lbT3_lS5_S5_lS6_T4_lS5_S5_l
    .private_segment_fixed_size: 0
    .sgpr_count:     44
    .sgpr_spill_count: 0
    .symbol:         _ZN9rocsolver6v33100L11gemm_kernelI19rocblas_complex_numIdEiS3_PS3_S4_S4_EEvT0_S5_S5_T1_bT2_lS5_S5_lbT3_lS5_S5_lS6_T4_lS5_S5_l.kd
    .uniform_work_group_size: 1
    .uses_dynamic_stack: false
    .vgpr_count:     22
    .vgpr_spill_count: 0
    .wavefront_size: 64
  - .agpr_count:     0
    .args:
      - .offset:         0
        .size:           4
        .value_kind:     by_value
      - .offset:         4
        .size:           4
        .value_kind:     by_value
      - .offset:         8
        .size:           4
        .value_kind:     by_value
      - .offset:         12
        .size:           4
        .value_kind:     by_value
      - .offset:         16
        .size:           4
        .value_kind:     by_value
      - .address_space:  global
        .offset:         24
        .size:           8
        .value_kind:     global_buffer
      - .address_space:  global
        .offset:         32
        .size:           8
        .value_kind:     global_buffer
      - .offset:         40
        .size:           8
        .value_kind:     by_value
      - .offset:         48
        .size:           4
        .value_kind:     by_value
      - .offset:         52
        .size:           4
        .value_kind:     by_value
      - .offset:         56
        .size:           8
        .value_kind:     by_value
      - .address_space:  global
        .offset:         64
        .size:           8
        .value_kind:     global_buffer
      - .offset:         72
        .size:           8
        .value_kind:     by_value
      - .offset:         80
        .size:           4
        .value_kind:     by_value
      - .offset:         84
        .size:           4
        .value_kind:     by_value
      - .offset:         88
        .size:           8
        .value_kind:     by_value
      - .address_space:  global
        .offset:         96
        .size:           8
        .value_kind:     global_buffer
      - .address_space:  global
        .offset:         104
        .size:           8
        .value_kind:     global_buffer
      - .offset:         112
        .size:           8
        .value_kind:     by_value
      - .offset:         120
        .size:           4
        .value_kind:     by_value
      - .offset:         124
        .size:           4
        .value_kind:     by_value
      - .offset:         128
        .size:           8
        .value_kind:     by_value
      - .offset:         136
        .size:           4
        .value_kind:     hidden_block_count_x
      - .offset:         140
        .size:           4
        .value_kind:     hidden_block_count_y
      - .offset:         144
        .size:           4
        .value_kind:     hidden_block_count_z
      - .offset:         148
        .size:           2
        .value_kind:     hidden_group_size_x
      - .offset:         150
        .size:           2
        .value_kind:     hidden_group_size_y
      - .offset:         152
        .size:           2
        .value_kind:     hidden_group_size_z
      - .offset:         154
        .size:           2
        .value_kind:     hidden_remainder_x
      - .offset:         156
        .size:           2
        .value_kind:     hidden_remainder_y
      - .offset:         158
        .size:           2
        .value_kind:     hidden_remainder_z
      - .offset:         176
        .size:           8
        .value_kind:     hidden_global_offset_x
      - .offset:         184
        .size:           8
        .value_kind:     hidden_global_offset_y
      - .offset:         192
        .size:           8
        .value_kind:     hidden_global_offset_z
      - .offset:         200
        .size:           2
        .value_kind:     hidden_grid_dims
    .group_segment_fixed_size: 0
    .kernarg_segment_align: 8
    .kernarg_segment_size: 392
    .language:       OpenCL C
    .language_version:
      - 2
      - 0
    .max_flat_workgroup_size: 1024
    .name:           _ZN9rocsolver6v33100L16mfma_gemm_kernelI19rocblas_complex_numIdEiPKS3_PKPS3_S8_S8_EEv18rocblas_operation_S9_T0_SA_SA_T1_T2_lSA_SA_lT3_lSA_SA_lSB_T4_lSA_SA_l
    .private_segment_fixed_size: 0
    .sgpr_count:     47
    .sgpr_spill_count: 0
    .symbol:         _ZN9rocsolver6v33100L16mfma_gemm_kernelI19rocblas_complex_numIdEiPKS3_PKPS3_S8_S8_EEv18rocblas_operation_S9_T0_SA_SA_T1_T2_lSA_SA_lT3_lSA_SA_lSB_T4_lSA_SA_l.kd
    .uniform_work_group_size: 1
    .uses_dynamic_stack: false
    .vgpr_count:     62
    .vgpr_spill_count: 0
    .wavefront_size: 64
  - .agpr_count:     0
    .args:
      - .offset:         0
        .size:           4
        .value_kind:     by_value
      - .offset:         4
        .size:           4
        .value_kind:     by_value
      - .offset:         8
        .size:           4
        .value_kind:     by_value
      - .offset:         12
        .size:           4
        .value_kind:     by_value
      - .offset:         16
        .size:           4
        .value_kind:     by_value
      - .offset:         24
        .size:           16
        .value_kind:     by_value
      - .address_space:  global
        .offset:         40
        .size:           8
        .value_kind:     global_buffer
      - .offset:         48
        .size:           8
        .value_kind:     by_value
      - .offset:         56
        .size:           4
        .value_kind:     by_value
      - .offset:         60
        .size:           4
        .value_kind:     by_value
      - .offset:         64
        .size:           8
        .value_kind:     by_value
      - .address_space:  global
        .offset:         72
        .size:           8
        .value_kind:     global_buffer
      - .offset:         80
        .size:           8
        .value_kind:     by_value
      - .offset:         88
        .size:           4
        .value_kind:     by_value
      - .offset:         92
        .size:           4
        .value_kind:     by_value
      - .offset:         96
        .size:           8
        .value_kind:     by_value
      - .offset:         104
        .size:           16
        .value_kind:     by_value
      - .address_space:  global
        .offset:         120
        .size:           8
        .value_kind:     global_buffer
      - .offset:         128
        .size:           8
        .value_kind:     by_value
      - .offset:         136
        .size:           4
        .value_kind:     by_value
      - .offset:         140
        .size:           4
        .value_kind:     by_value
      - .offset:         144
        .size:           8
        .value_kind:     by_value
      - .offset:         152
        .size:           4
        .value_kind:     hidden_block_count_x
      - .offset:         156
        .size:           4
        .value_kind:     hidden_block_count_y
      - .offset:         160
        .size:           4
        .value_kind:     hidden_block_count_z
      - .offset:         164
        .size:           2
        .value_kind:     hidden_group_size_x
      - .offset:         166
        .size:           2
        .value_kind:     hidden_group_size_y
      - .offset:         168
        .size:           2
        .value_kind:     hidden_group_size_z
      - .offset:         170
        .size:           2
        .value_kind:     hidden_remainder_x
      - .offset:         172
        .size:           2
        .value_kind:     hidden_remainder_y
      - .offset:         174
        .size:           2
        .value_kind:     hidden_remainder_z
      - .offset:         192
        .size:           8
        .value_kind:     hidden_global_offset_x
      - .offset:         200
        .size:           8
        .value_kind:     hidden_global_offset_y
      - .offset:         208
        .size:           8
        .value_kind:     hidden_global_offset_z
      - .offset:         216
        .size:           2
        .value_kind:     hidden_grid_dims
    .group_segment_fixed_size: 0
    .kernarg_segment_align: 8
    .kernarg_segment_size: 408
    .language:       OpenCL C
    .language_version:
      - 2
      - 0
    .max_flat_workgroup_size: 1024
    .name:           _ZN9rocsolver6v33100L16mfma_gemm_kernelI19rocblas_complex_numIdEiS3_PKPS3_S6_S6_EEv18rocblas_operation_S7_T0_S8_S8_T1_T2_lS8_S8_lT3_lS8_S8_lS9_T4_lS8_S8_l
    .private_segment_fixed_size: 0
    .sgpr_count:     47
    .sgpr_spill_count: 0
    .symbol:         _ZN9rocsolver6v33100L16mfma_gemm_kernelI19rocblas_complex_numIdEiS3_PKPS3_S6_S6_EEv18rocblas_operation_S7_T0_S8_S8_T1_T2_lS8_S8_lT3_lS8_S8_lS9_T4_lS8_S8_l.kd
    .uniform_work_group_size: 1
    .uses_dynamic_stack: false
    .vgpr_count:     62
    .vgpr_spill_count: 0
    .wavefront_size: 64
  - .agpr_count:     0
    .args:
      - .offset:         0
        .size:           4
        .value_kind:     by_value
      - .offset:         4
        .size:           4
        .value_kind:     by_value
      - .offset:         8
        .size:           4
        .value_kind:     by_value
      - .address_space:  global
        .offset:         16
        .size:           8
        .value_kind:     global_buffer
      - .offset:         24
        .size:           1
        .value_kind:     by_value
      - .address_space:  global
        .offset:         32
        .size:           8
        .value_kind:     global_buffer
      - .offset:         40
        .size:           8
        .value_kind:     by_value
      - .offset:         48
        .size:           4
        .value_kind:     by_value
      - .offset:         52
        .size:           4
        .value_kind:     by_value
      - .offset:         56
        .size:           8
        .value_kind:     by_value
      - .offset:         64
        .size:           1
        .value_kind:     by_value
      - .address_space:  global
        .offset:         72
        .size:           8
        .value_kind:     global_buffer
      - .offset:         80
        .size:           8
        .value_kind:     by_value
      - .offset:         88
        .size:           4
        .value_kind:     by_value
      - .offset:         92
        .size:           4
        .value_kind:     by_value
      - .offset:         96
        .size:           8
        .value_kind:     by_value
      - .address_space:  global
        .offset:         104
        .size:           8
        .value_kind:     global_buffer
      - .address_space:  global
        .offset:         112
        .size:           8
        .value_kind:     global_buffer
      - .offset:         120
        .size:           8
        .value_kind:     by_value
      - .offset:         128
        .size:           4
        .value_kind:     by_value
      - .offset:         132
        .size:           4
        .value_kind:     by_value
      - .offset:         136
        .size:           8
        .value_kind:     by_value
      - .offset:         144
        .size:           4
        .value_kind:     hidden_block_count_x
      - .offset:         148
        .size:           4
        .value_kind:     hidden_block_count_y
      - .offset:         152
        .size:           4
        .value_kind:     hidden_block_count_z
      - .offset:         156
        .size:           2
        .value_kind:     hidden_group_size_x
      - .offset:         158
        .size:           2
        .value_kind:     hidden_group_size_y
      - .offset:         160
        .size:           2
        .value_kind:     hidden_group_size_z
      - .offset:         162
        .size:           2
        .value_kind:     hidden_remainder_x
      - .offset:         164
        .size:           2
        .value_kind:     hidden_remainder_y
      - .offset:         166
        .size:           2
        .value_kind:     hidden_remainder_z
      - .offset:         184
        .size:           8
        .value_kind:     hidden_global_offset_x
      - .offset:         192
        .size:           8
        .value_kind:     hidden_global_offset_y
      - .offset:         200
        .size:           8
        .value_kind:     hidden_global_offset_z
      - .offset:         208
        .size:           2
        .value_kind:     hidden_grid_dims
    .group_segment_fixed_size: 0
    .kernarg_segment_align: 8
    .kernarg_segment_size: 400
    .language:       OpenCL C
    .language_version:
      - 2
      - 0
    .max_flat_workgroup_size: 1024
    .name:           _ZN9rocsolver6v33100L11gemm_kernelI19rocblas_complex_numIdEiPKS3_PKPS3_S8_S8_EEvT0_S9_S9_T1_bT2_lS9_S9_lbT3_lS9_S9_lSA_T4_lS9_S9_l
    .private_segment_fixed_size: 0
    .sgpr_count:     35
    .sgpr_spill_count: 0
    .symbol:         _ZN9rocsolver6v33100L11gemm_kernelI19rocblas_complex_numIdEiPKS3_PKPS3_S8_S8_EEvT0_S9_S9_T1_bT2_lS9_S9_lbT3_lS9_S9_lSA_T4_lS9_S9_l.kd
    .uniform_work_group_size: 1
    .uses_dynamic_stack: false
    .vgpr_count:     22
    .vgpr_spill_count: 0
    .wavefront_size: 64
  - .agpr_count:     0
    .args:
      - .offset:         0
        .size:           4
        .value_kind:     by_value
      - .offset:         4
        .size:           4
        .value_kind:     by_value
      - .offset:         8
        .size:           4
        .value_kind:     by_value
      - .offset:         16
        .size:           16
        .value_kind:     by_value
      - .offset:         32
        .size:           1
        .value_kind:     by_value
      - .address_space:  global
        .offset:         40
        .size:           8
        .value_kind:     global_buffer
      - .offset:         48
        .size:           8
        .value_kind:     by_value
      - .offset:         56
        .size:           4
        .value_kind:     by_value
      - .offset:         60
        .size:           4
        .value_kind:     by_value
      - .offset:         64
        .size:           8
        .value_kind:     by_value
      - .offset:         72
        .size:           1
        .value_kind:     by_value
      - .address_space:  global
        .offset:         80
        .size:           8
        .value_kind:     global_buffer
      - .offset:         88
        .size:           8
        .value_kind:     by_value
      - .offset:         96
        .size:           4
        .value_kind:     by_value
      - .offset:         100
        .size:           4
        .value_kind:     by_value
      - .offset:         104
        .size:           8
        .value_kind:     by_value
      - .offset:         112
        .size:           16
        .value_kind:     by_value
      - .address_space:  global
        .offset:         128
        .size:           8
        .value_kind:     global_buffer
      - .offset:         136
        .size:           8
        .value_kind:     by_value
      - .offset:         144
        .size:           4
        .value_kind:     by_value
      - .offset:         148
        .size:           4
        .value_kind:     by_value
      - .offset:         152
        .size:           8
        .value_kind:     by_value
      - .offset:         160
        .size:           4
        .value_kind:     hidden_block_count_x
      - .offset:         164
        .size:           4
        .value_kind:     hidden_block_count_y
      - .offset:         168
        .size:           4
        .value_kind:     hidden_block_count_z
      - .offset:         172
        .size:           2
        .value_kind:     hidden_group_size_x
      - .offset:         174
        .size:           2
        .value_kind:     hidden_group_size_y
      - .offset:         176
        .size:           2
        .value_kind:     hidden_group_size_z
      - .offset:         178
        .size:           2
        .value_kind:     hidden_remainder_x
      - .offset:         180
        .size:           2
        .value_kind:     hidden_remainder_y
      - .offset:         182
        .size:           2
        .value_kind:     hidden_remainder_z
      - .offset:         200
        .size:           8
        .value_kind:     hidden_global_offset_x
      - .offset:         208
        .size:           8
        .value_kind:     hidden_global_offset_y
      - .offset:         216
        .size:           8
        .value_kind:     hidden_global_offset_z
      - .offset:         224
        .size:           2
        .value_kind:     hidden_grid_dims
    .group_segment_fixed_size: 0
    .kernarg_segment_align: 8
    .kernarg_segment_size: 416
    .language:       OpenCL C
    .language_version:
      - 2
      - 0
    .max_flat_workgroup_size: 1024
    .name:           _ZN9rocsolver6v33100L11gemm_kernelI19rocblas_complex_numIdEiS3_PKPS3_S6_S6_EEvT0_S7_S7_T1_bT2_lS7_S7_lbT3_lS7_S7_lS8_T4_lS7_S7_l
    .private_segment_fixed_size: 0
    .sgpr_count:     35
    .sgpr_spill_count: 0
    .symbol:         _ZN9rocsolver6v33100L11gemm_kernelI19rocblas_complex_numIdEiS3_PKPS3_S6_S6_EEvT0_S7_S7_T1_bT2_lS7_S7_lbT3_lS7_S7_lS8_T4_lS7_S7_l.kd
    .uniform_work_group_size: 1
    .uses_dynamic_stack: false
    .vgpr_count:     22
    .vgpr_spill_count: 0
    .wavefront_size: 64
  - .agpr_count:     0
    .args:
      - .address_space:  global
        .offset:         0
        .size:           8
        .value_kind:     global_buffer
      - .address_space:  global
        .offset:         8
        .size:           8
        .value_kind:     global_buffer
      - .offset:         16
        .size:           8
        .value_kind:     by_value
      - .offset:         24
        .size:           4
        .value_kind:     by_value
      - .offset:         32
        .size:           4
        .value_kind:     hidden_block_count_x
      - .offset:         36
        .size:           4
        .value_kind:     hidden_block_count_y
      - .offset:         40
        .size:           4
        .value_kind:     hidden_block_count_z
      - .offset:         44
        .size:           2
        .value_kind:     hidden_group_size_x
      - .offset:         46
        .size:           2
        .value_kind:     hidden_group_size_y
      - .offset:         48
        .size:           2
        .value_kind:     hidden_group_size_z
      - .offset:         50
        .size:           2
        .value_kind:     hidden_remainder_x
      - .offset:         52
        .size:           2
        .value_kind:     hidden_remainder_y
      - .offset:         54
        .size:           2
        .value_kind:     hidden_remainder_z
      - .offset:         72
        .size:           8
        .value_kind:     hidden_global_offset_x
      - .offset:         80
        .size:           8
        .value_kind:     hidden_global_offset_y
      - .offset:         88
        .size:           8
        .value_kind:     hidden_global_offset_z
      - .offset:         96
        .size:           2
        .value_kind:     hidden_grid_dims
    .group_segment_fixed_size: 0
    .kernarg_segment_align: 8
    .kernarg_segment_size: 288
    .language:       OpenCL C
    .language_version:
      - 2
      - 0
    .max_flat_workgroup_size: 1024
    .name:           _ZN9rocsolver6v33100L9get_arrayI19rocblas_complex_numIdEiEEvPPT_S5_lT0_
    .private_segment_fixed_size: 0
    .sgpr_count:     12
    .sgpr_spill_count: 0
    .symbol:         _ZN9rocsolver6v33100L9get_arrayI19rocblas_complex_numIdEiEEvPPT_S5_lT0_.kd
    .uniform_work_group_size: 1
    .uses_dynamic_stack: false
    .vgpr_count:     6
    .vgpr_spill_count: 0
    .wavefront_size: 64
  - .agpr_count:     0
    .args:
      - .offset:         0
        .size:           4
        .value_kind:     by_value
      - .offset:         4
        .size:           4
        .value_kind:     by_value
      - .offset:         8
        .size:           4
        .value_kind:     by_value
      - .offset:         12
        .size:           4
        .value_kind:     by_value
      - .offset:         16
        .size:           4
        .value_kind:     by_value
      - .address_space:  global
        .offset:         24
        .size:           8
        .value_kind:     global_buffer
      - .address_space:  global
        .offset:         32
        .size:           8
        .value_kind:     global_buffer
      - .offset:         40
        .size:           8
        .value_kind:     by_value
      - .offset:         48
        .size:           4
        .value_kind:     by_value
      - .offset:         52
        .size:           4
        .value_kind:     by_value
      - .offset:         56
        .size:           8
        .value_kind:     by_value
      - .address_space:  global
        .offset:         64
        .size:           8
        .value_kind:     global_buffer
      - .offset:         72
        .size:           8
        .value_kind:     by_value
      - .offset:         80
        .size:           4
        .value_kind:     by_value
      - .offset:         84
        .size:           4
        .value_kind:     by_value
      - .offset:         88
        .size:           8
        .value_kind:     by_value
      - .address_space:  global
        .offset:         96
        .size:           8
        .value_kind:     global_buffer
      - .address_space:  global
        .offset:         104
        .size:           8
        .value_kind:     global_buffer
      - .offset:         112
        .size:           8
        .value_kind:     by_value
      - .offset:         120
        .size:           4
        .value_kind:     by_value
      - .offset:         124
        .size:           4
        .value_kind:     by_value
      - .offset:         128
        .size:           8
        .value_kind:     by_value
      - .offset:         136
        .size:           4
        .value_kind:     hidden_block_count_x
      - .offset:         140
        .size:           4
        .value_kind:     hidden_block_count_y
      - .offset:         144
        .size:           4
        .value_kind:     hidden_block_count_z
      - .offset:         148
        .size:           2
        .value_kind:     hidden_group_size_x
      - .offset:         150
        .size:           2
        .value_kind:     hidden_group_size_y
      - .offset:         152
        .size:           2
        .value_kind:     hidden_group_size_z
      - .offset:         154
        .size:           2
        .value_kind:     hidden_remainder_x
      - .offset:         156
        .size:           2
        .value_kind:     hidden_remainder_y
      - .offset:         158
        .size:           2
        .value_kind:     hidden_remainder_z
      - .offset:         176
        .size:           8
        .value_kind:     hidden_global_offset_x
      - .offset:         184
        .size:           8
        .value_kind:     hidden_global_offset_y
      - .offset:         192
        .size:           8
        .value_kind:     hidden_global_offset_z
      - .offset:         200
        .size:           2
        .value_kind:     hidden_grid_dims
    .group_segment_fixed_size: 0
    .kernarg_segment_align: 8
    .kernarg_segment_size: 392
    .language:       OpenCL C
    .language_version:
      - 2
      - 0
    .max_flat_workgroup_size: 1024
    .name:           _ZN9rocsolver6v33100L16mfma_gemm_kernelI19rocblas_complex_numIdEiPKS3_PS3_PKS6_S8_EEv18rocblas_operation_S9_T0_SA_SA_T1_T2_lSA_SA_lT3_lSA_SA_lSB_T4_lSA_SA_l
    .private_segment_fixed_size: 0
    .sgpr_count:     47
    .sgpr_spill_count: 0
    .symbol:         _ZN9rocsolver6v33100L16mfma_gemm_kernelI19rocblas_complex_numIdEiPKS3_PS3_PKS6_S8_EEv18rocblas_operation_S9_T0_SA_SA_T1_T2_lSA_SA_lT3_lSA_SA_lSB_T4_lSA_SA_l.kd
    .uniform_work_group_size: 1
    .uses_dynamic_stack: false
    .vgpr_count:     62
    .vgpr_spill_count: 0
    .wavefront_size: 64
  - .agpr_count:     0
    .args:
      - .offset:         0
        .size:           4
        .value_kind:     by_value
      - .offset:         4
        .size:           4
        .value_kind:     by_value
      - .offset:         8
        .size:           4
        .value_kind:     by_value
      - .offset:         12
        .size:           4
        .value_kind:     by_value
      - .offset:         16
        .size:           4
        .value_kind:     by_value
      - .offset:         24
        .size:           16
        .value_kind:     by_value
      - .address_space:  global
        .offset:         40
        .size:           8
        .value_kind:     global_buffer
      - .offset:         48
        .size:           8
        .value_kind:     by_value
      - .offset:         56
        .size:           4
        .value_kind:     by_value
      - .offset:         60
        .size:           4
        .value_kind:     by_value
      - .offset:         64
        .size:           8
        .value_kind:     by_value
      - .address_space:  global
        .offset:         72
        .size:           8
        .value_kind:     global_buffer
      - .offset:         80
        .size:           8
        .value_kind:     by_value
      - .offset:         88
        .size:           4
        .value_kind:     by_value
      - .offset:         92
        .size:           4
        .value_kind:     by_value
      - .offset:         96
        .size:           8
        .value_kind:     by_value
      - .offset:         104
        .size:           16
        .value_kind:     by_value
      - .address_space:  global
        .offset:         120
        .size:           8
        .value_kind:     global_buffer
      - .offset:         128
        .size:           8
        .value_kind:     by_value
      - .offset:         136
        .size:           4
        .value_kind:     by_value
      - .offset:         140
        .size:           4
        .value_kind:     by_value
      - .offset:         144
        .size:           8
        .value_kind:     by_value
      - .offset:         152
        .size:           4
        .value_kind:     hidden_block_count_x
      - .offset:         156
        .size:           4
        .value_kind:     hidden_block_count_y
      - .offset:         160
        .size:           4
        .value_kind:     hidden_block_count_z
      - .offset:         164
        .size:           2
        .value_kind:     hidden_group_size_x
      - .offset:         166
        .size:           2
        .value_kind:     hidden_group_size_y
      - .offset:         168
        .size:           2
        .value_kind:     hidden_group_size_z
      - .offset:         170
        .size:           2
        .value_kind:     hidden_remainder_x
      - .offset:         172
        .size:           2
        .value_kind:     hidden_remainder_y
      - .offset:         174
        .size:           2
        .value_kind:     hidden_remainder_z
      - .offset:         192
        .size:           8
        .value_kind:     hidden_global_offset_x
      - .offset:         200
        .size:           8
        .value_kind:     hidden_global_offset_y
      - .offset:         208
        .size:           8
        .value_kind:     hidden_global_offset_z
      - .offset:         216
        .size:           2
        .value_kind:     hidden_grid_dims
    .group_segment_fixed_size: 0
    .kernarg_segment_align: 8
    .kernarg_segment_size: 408
    .language:       OpenCL C
    .language_version:
      - 2
      - 0
    .max_flat_workgroup_size: 1024
    .name:           _ZN9rocsolver6v33100L16mfma_gemm_kernelI19rocblas_complex_numIdEiS3_PS3_PKS4_S6_EEv18rocblas_operation_S7_T0_S8_S8_T1_T2_lS8_S8_lT3_lS8_S8_lS9_T4_lS8_S8_l
    .private_segment_fixed_size: 0
    .sgpr_count:     48
    .sgpr_spill_count: 0
    .symbol:         _ZN9rocsolver6v33100L16mfma_gemm_kernelI19rocblas_complex_numIdEiS3_PS3_PKS4_S6_EEv18rocblas_operation_S7_T0_S8_S8_T1_T2_lS8_S8_lT3_lS8_S8_lS9_T4_lS8_S8_l.kd
    .uniform_work_group_size: 1
    .uses_dynamic_stack: false
    .vgpr_count:     62
    .vgpr_spill_count: 0
    .wavefront_size: 64
  - .agpr_count:     0
    .args:
      - .offset:         0
        .size:           4
        .value_kind:     by_value
      - .offset:         4
        .size:           4
        .value_kind:     by_value
      - .offset:         8
        .size:           4
        .value_kind:     by_value
      - .address_space:  global
        .offset:         16
        .size:           8
        .value_kind:     global_buffer
      - .offset:         24
        .size:           1
        .value_kind:     by_value
      - .address_space:  global
        .offset:         32
        .size:           8
        .value_kind:     global_buffer
      - .offset:         40
        .size:           8
        .value_kind:     by_value
      - .offset:         48
        .size:           4
        .value_kind:     by_value
      - .offset:         52
        .size:           4
        .value_kind:     by_value
      - .offset:         56
        .size:           8
        .value_kind:     by_value
      - .offset:         64
        .size:           1
        .value_kind:     by_value
      - .address_space:  global
        .offset:         72
        .size:           8
        .value_kind:     global_buffer
      - .offset:         80
        .size:           8
        .value_kind:     by_value
      - .offset:         88
        .size:           4
        .value_kind:     by_value
      - .offset:         92
        .size:           4
        .value_kind:     by_value
      - .offset:         96
        .size:           8
        .value_kind:     by_value
      - .address_space:  global
        .offset:         104
        .size:           8
        .value_kind:     global_buffer
      - .address_space:  global
        .offset:         112
        .size:           8
        .value_kind:     global_buffer
      - .offset:         120
        .size:           8
        .value_kind:     by_value
      - .offset:         128
        .size:           4
        .value_kind:     by_value
      - .offset:         132
        .size:           4
        .value_kind:     by_value
      - .offset:         136
        .size:           8
        .value_kind:     by_value
      - .offset:         144
        .size:           4
        .value_kind:     hidden_block_count_x
      - .offset:         148
        .size:           4
        .value_kind:     hidden_block_count_y
      - .offset:         152
        .size:           4
        .value_kind:     hidden_block_count_z
      - .offset:         156
        .size:           2
        .value_kind:     hidden_group_size_x
      - .offset:         158
        .size:           2
        .value_kind:     hidden_group_size_y
      - .offset:         160
        .size:           2
        .value_kind:     hidden_group_size_z
      - .offset:         162
        .size:           2
        .value_kind:     hidden_remainder_x
      - .offset:         164
        .size:           2
        .value_kind:     hidden_remainder_y
      - .offset:         166
        .size:           2
        .value_kind:     hidden_remainder_z
      - .offset:         184
        .size:           8
        .value_kind:     hidden_global_offset_x
      - .offset:         192
        .size:           8
        .value_kind:     hidden_global_offset_y
      - .offset:         200
        .size:           8
        .value_kind:     hidden_global_offset_z
      - .offset:         208
        .size:           2
        .value_kind:     hidden_grid_dims
    .group_segment_fixed_size: 0
    .kernarg_segment_align: 8
    .kernarg_segment_size: 400
    .language:       OpenCL C
    .language_version:
      - 2
      - 0
    .max_flat_workgroup_size: 1024
    .name:           _ZN9rocsolver6v33100L11gemm_kernelI19rocblas_complex_numIdEiPKS3_PS3_PKS6_S8_EEvT0_S9_S9_T1_bT2_lS9_S9_lbT3_lS9_S9_lSA_T4_lS9_S9_l
    .private_segment_fixed_size: 0
    .sgpr_count:     40
    .sgpr_spill_count: 0
    .symbol:         _ZN9rocsolver6v33100L11gemm_kernelI19rocblas_complex_numIdEiPKS3_PS3_PKS6_S8_EEvT0_S9_S9_T1_bT2_lS9_S9_lbT3_lS9_S9_lSA_T4_lS9_S9_l.kd
    .uniform_work_group_size: 1
    .uses_dynamic_stack: false
    .vgpr_count:     22
    .vgpr_spill_count: 0
    .wavefront_size: 64
  - .agpr_count:     0
    .args:
      - .offset:         0
        .size:           4
        .value_kind:     by_value
      - .offset:         4
        .size:           4
        .value_kind:     by_value
      - .offset:         8
        .size:           4
        .value_kind:     by_value
      - .offset:         16
        .size:           16
        .value_kind:     by_value
      - .offset:         32
        .size:           1
        .value_kind:     by_value
      - .address_space:  global
        .offset:         40
        .size:           8
        .value_kind:     global_buffer
      - .offset:         48
        .size:           8
        .value_kind:     by_value
      - .offset:         56
        .size:           4
        .value_kind:     by_value
      - .offset:         60
        .size:           4
        .value_kind:     by_value
      - .offset:         64
        .size:           8
        .value_kind:     by_value
      - .offset:         72
        .size:           1
        .value_kind:     by_value
      - .address_space:  global
        .offset:         80
        .size:           8
        .value_kind:     global_buffer
      - .offset:         88
        .size:           8
        .value_kind:     by_value
      - .offset:         96
        .size:           4
        .value_kind:     by_value
      - .offset:         100
        .size:           4
        .value_kind:     by_value
      - .offset:         104
        .size:           8
        .value_kind:     by_value
      - .offset:         112
        .size:           16
        .value_kind:     by_value
      - .address_space:  global
        .offset:         128
        .size:           8
        .value_kind:     global_buffer
      - .offset:         136
        .size:           8
        .value_kind:     by_value
      - .offset:         144
        .size:           4
        .value_kind:     by_value
      - .offset:         148
        .size:           4
        .value_kind:     by_value
      - .offset:         152
        .size:           8
        .value_kind:     by_value
      - .offset:         160
        .size:           4
        .value_kind:     hidden_block_count_x
      - .offset:         164
        .size:           4
        .value_kind:     hidden_block_count_y
      - .offset:         168
        .size:           4
        .value_kind:     hidden_block_count_z
      - .offset:         172
        .size:           2
        .value_kind:     hidden_group_size_x
      - .offset:         174
        .size:           2
        .value_kind:     hidden_group_size_y
      - .offset:         176
        .size:           2
        .value_kind:     hidden_group_size_z
      - .offset:         178
        .size:           2
        .value_kind:     hidden_remainder_x
      - .offset:         180
        .size:           2
        .value_kind:     hidden_remainder_y
      - .offset:         182
        .size:           2
        .value_kind:     hidden_remainder_z
      - .offset:         200
        .size:           8
        .value_kind:     hidden_global_offset_x
      - .offset:         208
        .size:           8
        .value_kind:     hidden_global_offset_y
      - .offset:         216
        .size:           8
        .value_kind:     hidden_global_offset_z
      - .offset:         224
        .size:           2
        .value_kind:     hidden_grid_dims
    .group_segment_fixed_size: 0
    .kernarg_segment_align: 8
    .kernarg_segment_size: 416
    .language:       OpenCL C
    .language_version:
      - 2
      - 0
    .max_flat_workgroup_size: 1024
    .name:           _ZN9rocsolver6v33100L11gemm_kernelI19rocblas_complex_numIdEiS3_PS3_PKS4_S6_EEvT0_S7_S7_T1_bT2_lS7_S7_lbT3_lS7_S7_lS8_T4_lS7_S7_l
    .private_segment_fixed_size: 0
    .sgpr_count:     44
    .sgpr_spill_count: 0
    .symbol:         _ZN9rocsolver6v33100L11gemm_kernelI19rocblas_complex_numIdEiS3_PS3_PKS4_S6_EEvT0_S7_S7_T1_bT2_lS7_S7_lbT3_lS7_S7_lS8_T4_lS7_S7_l.kd
    .uniform_work_group_size: 1
    .uses_dynamic_stack: false
    .vgpr_count:     22
    .vgpr_spill_count: 0
    .wavefront_size: 64
  - .agpr_count:     0
    .args:
      - .offset:         0
        .size:           4
        .value_kind:     by_value
      - .offset:         4
        .size:           4
        .value_kind:     by_value
      - .offset:         8
        .size:           4
        .value_kind:     by_value
      - .offset:         12
        .size:           4
        .value_kind:     by_value
      - .offset:         16
        .size:           4
        .value_kind:     by_value
      - .address_space:  global
        .offset:         24
        .size:           8
        .value_kind:     global_buffer
      - .address_space:  global
        .offset:         32
        .size:           8
        .value_kind:     global_buffer
      - .offset:         40
        .size:           8
        .value_kind:     by_value
      - .offset:         48
        .size:           4
        .value_kind:     by_value
      - .offset:         52
        .size:           4
        .value_kind:     by_value
      - .offset:         56
        .size:           8
        .value_kind:     by_value
      - .address_space:  global
        .offset:         64
        .size:           8
        .value_kind:     global_buffer
      - .offset:         72
        .size:           8
        .value_kind:     by_value
      - .offset:         80
        .size:           4
        .value_kind:     by_value
      - .offset:         84
        .size:           4
        .value_kind:     by_value
      - .offset:         88
        .size:           8
        .value_kind:     by_value
      - .address_space:  global
        .offset:         96
        .size:           8
        .value_kind:     global_buffer
      - .address_space:  global
        .offset:         104
        .size:           8
        .value_kind:     global_buffer
      - .offset:         112
        .size:           8
        .value_kind:     by_value
      - .offset:         120
        .size:           4
        .value_kind:     by_value
      - .offset:         124
        .size:           4
        .value_kind:     by_value
      - .offset:         128
        .size:           8
        .value_kind:     by_value
      - .offset:         136
        .size:           4
        .value_kind:     hidden_block_count_x
      - .offset:         140
        .size:           4
        .value_kind:     hidden_block_count_y
      - .offset:         144
        .size:           4
        .value_kind:     hidden_block_count_z
      - .offset:         148
        .size:           2
        .value_kind:     hidden_group_size_x
      - .offset:         150
        .size:           2
        .value_kind:     hidden_group_size_y
      - .offset:         152
        .size:           2
        .value_kind:     hidden_group_size_z
      - .offset:         154
        .size:           2
        .value_kind:     hidden_remainder_x
      - .offset:         156
        .size:           2
        .value_kind:     hidden_remainder_y
      - .offset:         158
        .size:           2
        .value_kind:     hidden_remainder_z
      - .offset:         176
        .size:           8
        .value_kind:     hidden_global_offset_x
      - .offset:         184
        .size:           8
        .value_kind:     hidden_global_offset_y
      - .offset:         192
        .size:           8
        .value_kind:     hidden_global_offset_z
      - .offset:         200
        .size:           2
        .value_kind:     hidden_grid_dims
    .group_segment_fixed_size: 0
    .kernarg_segment_align: 8
    .kernarg_segment_size: 392
    .language:       OpenCL C
    .language_version:
      - 2
      - 0
    .max_flat_workgroup_size: 1024
    .name:           _ZN9rocsolver6v33100L16mfma_gemm_kernelI19rocblas_complex_numIdEiPKS3_PKPS3_S6_S8_EEv18rocblas_operation_S9_T0_SA_SA_T1_T2_lSA_SA_lT3_lSA_SA_lSB_T4_lSA_SA_l
    .private_segment_fixed_size: 0
    .sgpr_count:     48
    .sgpr_spill_count: 0
    .symbol:         _ZN9rocsolver6v33100L16mfma_gemm_kernelI19rocblas_complex_numIdEiPKS3_PKPS3_S6_S8_EEv18rocblas_operation_S9_T0_SA_SA_T1_T2_lSA_SA_lT3_lSA_SA_lSB_T4_lSA_SA_l.kd
    .uniform_work_group_size: 1
    .uses_dynamic_stack: false
    .vgpr_count:     62
    .vgpr_spill_count: 0
    .wavefront_size: 64
  - .agpr_count:     0
    .args:
      - .offset:         0
        .size:           4
        .value_kind:     by_value
      - .offset:         4
        .size:           4
        .value_kind:     by_value
      - .offset:         8
        .size:           4
        .value_kind:     by_value
      - .offset:         12
        .size:           4
        .value_kind:     by_value
      - .offset:         16
        .size:           4
        .value_kind:     by_value
      - .offset:         24
        .size:           16
        .value_kind:     by_value
      - .address_space:  global
        .offset:         40
        .size:           8
        .value_kind:     global_buffer
      - .offset:         48
        .size:           8
        .value_kind:     by_value
      - .offset:         56
        .size:           4
        .value_kind:     by_value
      - .offset:         60
        .size:           4
        .value_kind:     by_value
      - .offset:         64
        .size:           8
        .value_kind:     by_value
      - .address_space:  global
        .offset:         72
        .size:           8
        .value_kind:     global_buffer
      - .offset:         80
        .size:           8
        .value_kind:     by_value
      - .offset:         88
        .size:           4
        .value_kind:     by_value
      - .offset:         92
        .size:           4
        .value_kind:     by_value
      - .offset:         96
        .size:           8
        .value_kind:     by_value
      - .offset:         104
        .size:           16
        .value_kind:     by_value
      - .address_space:  global
        .offset:         120
        .size:           8
        .value_kind:     global_buffer
      - .offset:         128
        .size:           8
        .value_kind:     by_value
      - .offset:         136
        .size:           4
        .value_kind:     by_value
      - .offset:         140
        .size:           4
        .value_kind:     by_value
      - .offset:         144
        .size:           8
        .value_kind:     by_value
      - .offset:         152
        .size:           4
        .value_kind:     hidden_block_count_x
      - .offset:         156
        .size:           4
        .value_kind:     hidden_block_count_y
      - .offset:         160
        .size:           4
        .value_kind:     hidden_block_count_z
      - .offset:         164
        .size:           2
        .value_kind:     hidden_group_size_x
      - .offset:         166
        .size:           2
        .value_kind:     hidden_group_size_y
      - .offset:         168
        .size:           2
        .value_kind:     hidden_group_size_z
      - .offset:         170
        .size:           2
        .value_kind:     hidden_remainder_x
      - .offset:         172
        .size:           2
        .value_kind:     hidden_remainder_y
      - .offset:         174
        .size:           2
        .value_kind:     hidden_remainder_z
      - .offset:         192
        .size:           8
        .value_kind:     hidden_global_offset_x
      - .offset:         200
        .size:           8
        .value_kind:     hidden_global_offset_y
      - .offset:         208
        .size:           8
        .value_kind:     hidden_global_offset_z
      - .offset:         216
        .size:           2
        .value_kind:     hidden_grid_dims
    .group_segment_fixed_size: 0
    .kernarg_segment_align: 8
    .kernarg_segment_size: 408
    .language:       OpenCL C
    .language_version:
      - 2
      - 0
    .max_flat_workgroup_size: 1024
    .name:           _ZN9rocsolver6v33100L16mfma_gemm_kernelI19rocblas_complex_numIdEiS3_PKPS3_S4_S6_EEv18rocblas_operation_S7_T0_S8_S8_T1_T2_lS8_S8_lT3_lS8_S8_lS9_T4_lS8_S8_l
    .private_segment_fixed_size: 0
    .sgpr_count:     47
    .sgpr_spill_count: 0
    .symbol:         _ZN9rocsolver6v33100L16mfma_gemm_kernelI19rocblas_complex_numIdEiS3_PKPS3_S4_S6_EEv18rocblas_operation_S7_T0_S8_S8_T1_T2_lS8_S8_lT3_lS8_S8_lS9_T4_lS8_S8_l.kd
    .uniform_work_group_size: 1
    .uses_dynamic_stack: false
    .vgpr_count:     62
    .vgpr_spill_count: 0
    .wavefront_size: 64
  - .agpr_count:     0
    .args:
      - .offset:         0
        .size:           4
        .value_kind:     by_value
      - .offset:         4
        .size:           4
        .value_kind:     by_value
      - .offset:         8
        .size:           4
        .value_kind:     by_value
      - .address_space:  global
        .offset:         16
        .size:           8
        .value_kind:     global_buffer
      - .offset:         24
        .size:           1
        .value_kind:     by_value
      - .address_space:  global
        .offset:         32
        .size:           8
        .value_kind:     global_buffer
      - .offset:         40
        .size:           8
        .value_kind:     by_value
      - .offset:         48
        .size:           4
        .value_kind:     by_value
      - .offset:         52
        .size:           4
        .value_kind:     by_value
      - .offset:         56
        .size:           8
        .value_kind:     by_value
      - .offset:         64
        .size:           1
        .value_kind:     by_value
      - .address_space:  global
        .offset:         72
        .size:           8
        .value_kind:     global_buffer
      - .offset:         80
        .size:           8
        .value_kind:     by_value
      - .offset:         88
        .size:           4
        .value_kind:     by_value
      - .offset:         92
        .size:           4
        .value_kind:     by_value
      - .offset:         96
        .size:           8
        .value_kind:     by_value
      - .address_space:  global
        .offset:         104
        .size:           8
        .value_kind:     global_buffer
      - .address_space:  global
        .offset:         112
        .size:           8
        .value_kind:     global_buffer
      - .offset:         120
        .size:           8
        .value_kind:     by_value
      - .offset:         128
        .size:           4
        .value_kind:     by_value
      - .offset:         132
        .size:           4
        .value_kind:     by_value
      - .offset:         136
        .size:           8
        .value_kind:     by_value
      - .offset:         144
        .size:           4
        .value_kind:     hidden_block_count_x
      - .offset:         148
        .size:           4
        .value_kind:     hidden_block_count_y
      - .offset:         152
        .size:           4
        .value_kind:     hidden_block_count_z
      - .offset:         156
        .size:           2
        .value_kind:     hidden_group_size_x
      - .offset:         158
        .size:           2
        .value_kind:     hidden_group_size_y
      - .offset:         160
        .size:           2
        .value_kind:     hidden_group_size_z
      - .offset:         162
        .size:           2
        .value_kind:     hidden_remainder_x
      - .offset:         164
        .size:           2
        .value_kind:     hidden_remainder_y
      - .offset:         166
        .size:           2
        .value_kind:     hidden_remainder_z
      - .offset:         184
        .size:           8
        .value_kind:     hidden_global_offset_x
      - .offset:         192
        .size:           8
        .value_kind:     hidden_global_offset_y
      - .offset:         200
        .size:           8
        .value_kind:     hidden_global_offset_z
      - .offset:         208
        .size:           2
        .value_kind:     hidden_grid_dims
    .group_segment_fixed_size: 0
    .kernarg_segment_align: 8
    .kernarg_segment_size: 400
    .language:       OpenCL C
    .language_version:
      - 2
      - 0
    .max_flat_workgroup_size: 1024
    .name:           _ZN9rocsolver6v33100L11gemm_kernelI19rocblas_complex_numIdEiPKS3_PKPS3_S6_S8_EEvT0_S9_S9_T1_bT2_lS9_S9_lbT3_lS9_S9_lSA_T4_lS9_S9_l
    .private_segment_fixed_size: 0
    .sgpr_count:     36
    .sgpr_spill_count: 0
    .symbol:         _ZN9rocsolver6v33100L11gemm_kernelI19rocblas_complex_numIdEiPKS3_PKPS3_S6_S8_EEvT0_S9_S9_T1_bT2_lS9_S9_lbT3_lS9_S9_lSA_T4_lS9_S9_l.kd
    .uniform_work_group_size: 1
    .uses_dynamic_stack: false
    .vgpr_count:     22
    .vgpr_spill_count: 0
    .wavefront_size: 64
  - .agpr_count:     0
    .args:
      - .offset:         0
        .size:           4
        .value_kind:     by_value
      - .offset:         4
        .size:           4
        .value_kind:     by_value
      - .offset:         8
        .size:           4
        .value_kind:     by_value
      - .offset:         16
        .size:           16
        .value_kind:     by_value
      - .offset:         32
        .size:           1
        .value_kind:     by_value
      - .address_space:  global
        .offset:         40
        .size:           8
        .value_kind:     global_buffer
      - .offset:         48
        .size:           8
        .value_kind:     by_value
      - .offset:         56
        .size:           4
        .value_kind:     by_value
      - .offset:         60
        .size:           4
        .value_kind:     by_value
      - .offset:         64
        .size:           8
        .value_kind:     by_value
      - .offset:         72
        .size:           1
        .value_kind:     by_value
      - .address_space:  global
        .offset:         80
        .size:           8
        .value_kind:     global_buffer
      - .offset:         88
        .size:           8
        .value_kind:     by_value
      - .offset:         96
        .size:           4
        .value_kind:     by_value
      - .offset:         100
        .size:           4
        .value_kind:     by_value
      - .offset:         104
        .size:           8
        .value_kind:     by_value
      - .offset:         112
        .size:           16
        .value_kind:     by_value
      - .address_space:  global
        .offset:         128
        .size:           8
        .value_kind:     global_buffer
      - .offset:         136
        .size:           8
        .value_kind:     by_value
      - .offset:         144
        .size:           4
        .value_kind:     by_value
      - .offset:         148
        .size:           4
        .value_kind:     by_value
      - .offset:         152
        .size:           8
        .value_kind:     by_value
      - .offset:         160
        .size:           4
        .value_kind:     hidden_block_count_x
      - .offset:         164
        .size:           4
        .value_kind:     hidden_block_count_y
      - .offset:         168
        .size:           4
        .value_kind:     hidden_block_count_z
      - .offset:         172
        .size:           2
        .value_kind:     hidden_group_size_x
      - .offset:         174
        .size:           2
        .value_kind:     hidden_group_size_y
      - .offset:         176
        .size:           2
        .value_kind:     hidden_group_size_z
      - .offset:         178
        .size:           2
        .value_kind:     hidden_remainder_x
      - .offset:         180
        .size:           2
        .value_kind:     hidden_remainder_y
      - .offset:         182
        .size:           2
        .value_kind:     hidden_remainder_z
      - .offset:         200
        .size:           8
        .value_kind:     hidden_global_offset_x
      - .offset:         208
        .size:           8
        .value_kind:     hidden_global_offset_y
      - .offset:         216
        .size:           8
        .value_kind:     hidden_global_offset_z
      - .offset:         224
        .size:           2
        .value_kind:     hidden_grid_dims
    .group_segment_fixed_size: 0
    .kernarg_segment_align: 8
    .kernarg_segment_size: 416
    .language:       OpenCL C
    .language_version:
      - 2
      - 0
    .max_flat_workgroup_size: 1024
    .name:           _ZN9rocsolver6v33100L11gemm_kernelI19rocblas_complex_numIdEiS3_PKPS3_S4_S6_EEvT0_S7_S7_T1_bT2_lS7_S7_lbT3_lS7_S7_lS8_T4_lS7_S7_l
    .private_segment_fixed_size: 0
    .sgpr_count:     36
    .sgpr_spill_count: 0
    .symbol:         _ZN9rocsolver6v33100L11gemm_kernelI19rocblas_complex_numIdEiS3_PKPS3_S4_S6_EEvT0_S7_S7_T1_bT2_lS7_S7_lbT3_lS7_S7_lS8_T4_lS7_S7_l.kd
    .uniform_work_group_size: 1
    .uses_dynamic_stack: false
    .vgpr_count:     22
    .vgpr_spill_count: 0
    .wavefront_size: 64
  - .agpr_count:     0
    .args:
      - .offset:         0
        .size:           4
        .value_kind:     by_value
      - .offset:         4
        .size:           4
        .value_kind:     by_value
      - .offset:         8
        .size:           4
        .value_kind:     by_value
      - .offset:         12
        .size:           4
        .value_kind:     by_value
      - .offset:         16
        .size:           4
        .value_kind:     by_value
      - .address_space:  global
        .offset:         24
        .size:           8
        .value_kind:     global_buffer
      - .address_space:  global
        .offset:         32
        .size:           8
        .value_kind:     global_buffer
      - .offset:         40
        .size:           8
        .value_kind:     by_value
      - .offset:         48
        .size:           4
        .value_kind:     by_value
      - .offset:         52
        .size:           4
        .value_kind:     by_value
      - .offset:         56
        .size:           8
        .value_kind:     by_value
      - .address_space:  global
        .offset:         64
        .size:           8
        .value_kind:     global_buffer
      - .offset:         72
        .size:           8
        .value_kind:     by_value
      - .offset:         80
        .size:           4
        .value_kind:     by_value
      - .offset:         84
        .size:           4
        .value_kind:     by_value
      - .offset:         88
        .size:           8
        .value_kind:     by_value
      - .address_space:  global
        .offset:         96
        .size:           8
        .value_kind:     global_buffer
      - .address_space:  global
        .offset:         104
        .size:           8
        .value_kind:     global_buffer
      - .offset:         112
        .size:           8
        .value_kind:     by_value
      - .offset:         120
        .size:           4
        .value_kind:     by_value
      - .offset:         124
        .size:           4
        .value_kind:     by_value
      - .offset:         128
        .size:           8
        .value_kind:     by_value
      - .offset:         136
        .size:           4
        .value_kind:     hidden_block_count_x
      - .offset:         140
        .size:           4
        .value_kind:     hidden_block_count_y
      - .offset:         144
        .size:           4
        .value_kind:     hidden_block_count_z
      - .offset:         148
        .size:           2
        .value_kind:     hidden_group_size_x
      - .offset:         150
        .size:           2
        .value_kind:     hidden_group_size_y
      - .offset:         152
        .size:           2
        .value_kind:     hidden_group_size_z
      - .offset:         154
        .size:           2
        .value_kind:     hidden_remainder_x
      - .offset:         156
        .size:           2
        .value_kind:     hidden_remainder_y
      - .offset:         158
        .size:           2
        .value_kind:     hidden_remainder_z
      - .offset:         176
        .size:           8
        .value_kind:     hidden_global_offset_x
      - .offset:         184
        .size:           8
        .value_kind:     hidden_global_offset_y
      - .offset:         192
        .size:           8
        .value_kind:     hidden_global_offset_z
      - .offset:         200
        .size:           2
        .value_kind:     hidden_grid_dims
    .group_segment_fixed_size: 0
    .kernarg_segment_align: 8
    .kernarg_segment_size: 392
    .language:       OpenCL C
    .language_version:
      - 2
      - 0
    .max_flat_workgroup_size: 1024
    .name:           _ZN9rocsolver6v33100L16mfma_gemm_kernelI19rocblas_complex_numIdEiPKS3_PKPS3_S8_S6_EEv18rocblas_operation_S9_T0_SA_SA_T1_T2_lSA_SA_lT3_lSA_SA_lSB_T4_lSA_SA_l
    .private_segment_fixed_size: 0
    .sgpr_count:     49
    .sgpr_spill_count: 0
    .symbol:         _ZN9rocsolver6v33100L16mfma_gemm_kernelI19rocblas_complex_numIdEiPKS3_PKPS3_S8_S6_EEv18rocblas_operation_S9_T0_SA_SA_T1_T2_lSA_SA_lT3_lSA_SA_lSB_T4_lSA_SA_l.kd
    .uniform_work_group_size: 1
    .uses_dynamic_stack: false
    .vgpr_count:     62
    .vgpr_spill_count: 0
    .wavefront_size: 64
  - .agpr_count:     0
    .args:
      - .offset:         0
        .size:           4
        .value_kind:     by_value
      - .offset:         4
        .size:           4
        .value_kind:     by_value
      - .offset:         8
        .size:           4
        .value_kind:     by_value
      - .offset:         12
        .size:           4
        .value_kind:     by_value
      - .offset:         16
        .size:           4
        .value_kind:     by_value
      - .offset:         24
        .size:           16
        .value_kind:     by_value
      - .address_space:  global
        .offset:         40
        .size:           8
        .value_kind:     global_buffer
      - .offset:         48
        .size:           8
        .value_kind:     by_value
      - .offset:         56
        .size:           4
        .value_kind:     by_value
      - .offset:         60
        .size:           4
        .value_kind:     by_value
      - .offset:         64
        .size:           8
        .value_kind:     by_value
      - .address_space:  global
        .offset:         72
        .size:           8
        .value_kind:     global_buffer
      - .offset:         80
        .size:           8
        .value_kind:     by_value
      - .offset:         88
        .size:           4
        .value_kind:     by_value
      - .offset:         92
        .size:           4
        .value_kind:     by_value
      - .offset:         96
        .size:           8
        .value_kind:     by_value
      - .offset:         104
        .size:           16
        .value_kind:     by_value
      - .address_space:  global
        .offset:         120
        .size:           8
        .value_kind:     global_buffer
      - .offset:         128
        .size:           8
        .value_kind:     by_value
      - .offset:         136
        .size:           4
        .value_kind:     by_value
      - .offset:         140
        .size:           4
        .value_kind:     by_value
      - .offset:         144
        .size:           8
        .value_kind:     by_value
      - .offset:         152
        .size:           4
        .value_kind:     hidden_block_count_x
      - .offset:         156
        .size:           4
        .value_kind:     hidden_block_count_y
      - .offset:         160
        .size:           4
        .value_kind:     hidden_block_count_z
      - .offset:         164
        .size:           2
        .value_kind:     hidden_group_size_x
      - .offset:         166
        .size:           2
        .value_kind:     hidden_group_size_y
      - .offset:         168
        .size:           2
        .value_kind:     hidden_group_size_z
      - .offset:         170
        .size:           2
        .value_kind:     hidden_remainder_x
      - .offset:         172
        .size:           2
        .value_kind:     hidden_remainder_y
      - .offset:         174
        .size:           2
        .value_kind:     hidden_remainder_z
      - .offset:         192
        .size:           8
        .value_kind:     hidden_global_offset_x
      - .offset:         200
        .size:           8
        .value_kind:     hidden_global_offset_y
      - .offset:         208
        .size:           8
        .value_kind:     hidden_global_offset_z
      - .offset:         216
        .size:           2
        .value_kind:     hidden_grid_dims
    .group_segment_fixed_size: 0
    .kernarg_segment_align: 8
    .kernarg_segment_size: 408
    .language:       OpenCL C
    .language_version:
      - 2
      - 0
    .max_flat_workgroup_size: 1024
    .name:           _ZN9rocsolver6v33100L16mfma_gemm_kernelI19rocblas_complex_numIdEiS3_PKPS3_S6_S4_EEv18rocblas_operation_S7_T0_S8_S8_T1_T2_lS8_S8_lT3_lS8_S8_lS9_T4_lS8_S8_l
    .private_segment_fixed_size: 0
    .sgpr_count:     41
    .sgpr_spill_count: 0
    .symbol:         _ZN9rocsolver6v33100L16mfma_gemm_kernelI19rocblas_complex_numIdEiS3_PKPS3_S6_S4_EEv18rocblas_operation_S7_T0_S8_S8_T1_T2_lS8_S8_lT3_lS8_S8_lS9_T4_lS8_S8_l.kd
    .uniform_work_group_size: 1
    .uses_dynamic_stack: false
    .vgpr_count:     62
    .vgpr_spill_count: 0
    .wavefront_size: 64
  - .agpr_count:     0
    .args:
      - .offset:         0
        .size:           4
        .value_kind:     by_value
      - .offset:         4
        .size:           4
        .value_kind:     by_value
      - .offset:         8
        .size:           4
        .value_kind:     by_value
      - .address_space:  global
        .offset:         16
        .size:           8
        .value_kind:     global_buffer
      - .offset:         24
        .size:           1
        .value_kind:     by_value
      - .address_space:  global
        .offset:         32
        .size:           8
        .value_kind:     global_buffer
      - .offset:         40
        .size:           8
        .value_kind:     by_value
      - .offset:         48
        .size:           4
        .value_kind:     by_value
      - .offset:         52
        .size:           4
        .value_kind:     by_value
      - .offset:         56
        .size:           8
        .value_kind:     by_value
      - .offset:         64
        .size:           1
        .value_kind:     by_value
      - .address_space:  global
        .offset:         72
        .size:           8
        .value_kind:     global_buffer
      - .offset:         80
        .size:           8
        .value_kind:     by_value
      - .offset:         88
        .size:           4
        .value_kind:     by_value
      - .offset:         92
        .size:           4
        .value_kind:     by_value
      - .offset:         96
        .size:           8
        .value_kind:     by_value
      - .address_space:  global
        .offset:         104
        .size:           8
        .value_kind:     global_buffer
      - .address_space:  global
        .offset:         112
        .size:           8
        .value_kind:     global_buffer
      - .offset:         120
        .size:           8
        .value_kind:     by_value
      - .offset:         128
        .size:           4
        .value_kind:     by_value
      - .offset:         132
        .size:           4
        .value_kind:     by_value
      - .offset:         136
        .size:           8
        .value_kind:     by_value
      - .offset:         144
        .size:           4
        .value_kind:     hidden_block_count_x
      - .offset:         148
        .size:           4
        .value_kind:     hidden_block_count_y
      - .offset:         152
        .size:           4
        .value_kind:     hidden_block_count_z
      - .offset:         156
        .size:           2
        .value_kind:     hidden_group_size_x
      - .offset:         158
        .size:           2
        .value_kind:     hidden_group_size_y
      - .offset:         160
        .size:           2
        .value_kind:     hidden_group_size_z
      - .offset:         162
        .size:           2
        .value_kind:     hidden_remainder_x
      - .offset:         164
        .size:           2
        .value_kind:     hidden_remainder_y
      - .offset:         166
        .size:           2
        .value_kind:     hidden_remainder_z
      - .offset:         184
        .size:           8
        .value_kind:     hidden_global_offset_x
      - .offset:         192
        .size:           8
        .value_kind:     hidden_global_offset_y
      - .offset:         200
        .size:           8
        .value_kind:     hidden_global_offset_z
      - .offset:         208
        .size:           2
        .value_kind:     hidden_grid_dims
    .group_segment_fixed_size: 0
    .kernarg_segment_align: 8
    .kernarg_segment_size: 400
    .language:       OpenCL C
    .language_version:
      - 2
      - 0
    .max_flat_workgroup_size: 1024
    .name:           _ZN9rocsolver6v33100L11gemm_kernelI19rocblas_complex_numIdEiPKS3_PKPS3_S8_S6_EEvT0_S9_S9_T1_bT2_lS9_S9_lbT3_lS9_S9_lSA_T4_lS9_S9_l
    .private_segment_fixed_size: 0
    .sgpr_count:     35
    .sgpr_spill_count: 0
    .symbol:         _ZN9rocsolver6v33100L11gemm_kernelI19rocblas_complex_numIdEiPKS3_PKPS3_S8_S6_EEvT0_S9_S9_T1_bT2_lS9_S9_lbT3_lS9_S9_lSA_T4_lS9_S9_l.kd
    .uniform_work_group_size: 1
    .uses_dynamic_stack: false
    .vgpr_count:     22
    .vgpr_spill_count: 0
    .wavefront_size: 64
  - .agpr_count:     0
    .args:
      - .offset:         0
        .size:           4
        .value_kind:     by_value
      - .offset:         4
        .size:           4
        .value_kind:     by_value
      - .offset:         8
        .size:           4
        .value_kind:     by_value
      - .offset:         16
        .size:           16
        .value_kind:     by_value
      - .offset:         32
        .size:           1
        .value_kind:     by_value
      - .address_space:  global
        .offset:         40
        .size:           8
        .value_kind:     global_buffer
      - .offset:         48
        .size:           8
        .value_kind:     by_value
      - .offset:         56
        .size:           4
        .value_kind:     by_value
      - .offset:         60
        .size:           4
        .value_kind:     by_value
      - .offset:         64
        .size:           8
        .value_kind:     by_value
      - .offset:         72
        .size:           1
        .value_kind:     by_value
      - .address_space:  global
        .offset:         80
        .size:           8
        .value_kind:     global_buffer
      - .offset:         88
        .size:           8
        .value_kind:     by_value
      - .offset:         96
        .size:           4
        .value_kind:     by_value
      - .offset:         100
        .size:           4
        .value_kind:     by_value
      - .offset:         104
        .size:           8
        .value_kind:     by_value
      - .offset:         112
        .size:           16
        .value_kind:     by_value
      - .address_space:  global
        .offset:         128
        .size:           8
        .value_kind:     global_buffer
      - .offset:         136
        .size:           8
        .value_kind:     by_value
      - .offset:         144
        .size:           4
        .value_kind:     by_value
      - .offset:         148
        .size:           4
        .value_kind:     by_value
      - .offset:         152
        .size:           8
        .value_kind:     by_value
      - .offset:         160
        .size:           4
        .value_kind:     hidden_block_count_x
      - .offset:         164
        .size:           4
        .value_kind:     hidden_block_count_y
      - .offset:         168
        .size:           4
        .value_kind:     hidden_block_count_z
      - .offset:         172
        .size:           2
        .value_kind:     hidden_group_size_x
      - .offset:         174
        .size:           2
        .value_kind:     hidden_group_size_y
      - .offset:         176
        .size:           2
        .value_kind:     hidden_group_size_z
      - .offset:         178
        .size:           2
        .value_kind:     hidden_remainder_x
      - .offset:         180
        .size:           2
        .value_kind:     hidden_remainder_y
      - .offset:         182
        .size:           2
        .value_kind:     hidden_remainder_z
      - .offset:         200
        .size:           8
        .value_kind:     hidden_global_offset_x
      - .offset:         208
        .size:           8
        .value_kind:     hidden_global_offset_y
      - .offset:         216
        .size:           8
        .value_kind:     hidden_global_offset_z
      - .offset:         224
        .size:           2
        .value_kind:     hidden_grid_dims
    .group_segment_fixed_size: 0
    .kernarg_segment_align: 8
    .kernarg_segment_size: 416
    .language:       OpenCL C
    .language_version:
      - 2
      - 0
    .max_flat_workgroup_size: 1024
    .name:           _ZN9rocsolver6v33100L11gemm_kernelI19rocblas_complex_numIdEiS3_PKPS3_S6_S4_EEvT0_S7_S7_T1_bT2_lS7_S7_lbT3_lS7_S7_lS8_T4_lS7_S7_l
    .private_segment_fixed_size: 0
    .sgpr_count:     27
    .sgpr_spill_count: 0
    .symbol:         _ZN9rocsolver6v33100L11gemm_kernelI19rocblas_complex_numIdEiS3_PKPS3_S6_S4_EEvT0_S7_S7_T1_bT2_lS7_S7_lbT3_lS7_S7_lS8_T4_lS7_S7_l.kd
    .uniform_work_group_size: 1
    .uses_dynamic_stack: false
    .vgpr_count:     22
    .vgpr_spill_count: 0
    .wavefront_size: 64
  - .agpr_count:     0
    .args:
      - .offset:         0
        .size:           4
        .value_kind:     by_value
      - .offset:         4
        .size:           4
        .value_kind:     by_value
      - .offset:         8
        .size:           4
        .value_kind:     by_value
      - .offset:         12
        .size:           4
        .value_kind:     by_value
      - .offset:         16
        .size:           4
        .value_kind:     by_value
      - .address_space:  global
        .offset:         24
        .size:           8
        .value_kind:     global_buffer
      - .address_space:  global
        .offset:         32
        .size:           8
        .value_kind:     global_buffer
      - .offset:         40
        .size:           8
        .value_kind:     by_value
      - .offset:         48
        .size:           4
        .value_kind:     by_value
      - .offset:         52
        .size:           4
        .value_kind:     by_value
      - .offset:         56
        .size:           8
        .value_kind:     by_value
      - .address_space:  global
        .offset:         64
        .size:           8
        .value_kind:     global_buffer
      - .offset:         72
        .size:           8
        .value_kind:     by_value
      - .offset:         80
        .size:           4
        .value_kind:     by_value
      - .offset:         84
        .size:           4
        .value_kind:     by_value
      - .offset:         88
        .size:           8
        .value_kind:     by_value
      - .address_space:  global
        .offset:         96
        .size:           8
        .value_kind:     global_buffer
      - .address_space:  global
        .offset:         104
        .size:           8
        .value_kind:     global_buffer
      - .offset:         112
        .size:           8
        .value_kind:     by_value
      - .offset:         120
        .size:           4
        .value_kind:     by_value
      - .offset:         124
        .size:           4
        .value_kind:     by_value
      - .offset:         128
        .size:           8
        .value_kind:     by_value
      - .offset:         136
        .size:           4
        .value_kind:     hidden_block_count_x
      - .offset:         140
        .size:           4
        .value_kind:     hidden_block_count_y
      - .offset:         144
        .size:           4
        .value_kind:     hidden_block_count_z
      - .offset:         148
        .size:           2
        .value_kind:     hidden_group_size_x
      - .offset:         150
        .size:           2
        .value_kind:     hidden_group_size_y
      - .offset:         152
        .size:           2
        .value_kind:     hidden_group_size_z
      - .offset:         154
        .size:           2
        .value_kind:     hidden_remainder_x
      - .offset:         156
        .size:           2
        .value_kind:     hidden_remainder_y
      - .offset:         158
        .size:           2
        .value_kind:     hidden_remainder_z
      - .offset:         176
        .size:           8
        .value_kind:     hidden_global_offset_x
      - .offset:         184
        .size:           8
        .value_kind:     hidden_global_offset_y
      - .offset:         192
        .size:           8
        .value_kind:     hidden_global_offset_z
      - .offset:         200
        .size:           2
        .value_kind:     hidden_grid_dims
    .group_segment_fixed_size: 0
    .kernarg_segment_align: 8
    .kernarg_segment_size: 392
    .language:       OpenCL C
    .language_version:
      - 2
      - 0
    .max_flat_workgroup_size: 1024
    .name:           _ZN9rocsolver6v33100L16mfma_gemm_kernelI19rocblas_complex_numIdEiPKS3_PKPS3_S6_S6_EEv18rocblas_operation_S9_T0_SA_SA_T1_T2_lSA_SA_lT3_lSA_SA_lSB_T4_lSA_SA_l
    .private_segment_fixed_size: 0
    .sgpr_count:     50
    .sgpr_spill_count: 0
    .symbol:         _ZN9rocsolver6v33100L16mfma_gemm_kernelI19rocblas_complex_numIdEiPKS3_PKPS3_S6_S6_EEv18rocblas_operation_S9_T0_SA_SA_T1_T2_lSA_SA_lT3_lSA_SA_lSB_T4_lSA_SA_l.kd
    .uniform_work_group_size: 1
    .uses_dynamic_stack: false
    .vgpr_count:     62
    .vgpr_spill_count: 0
    .wavefront_size: 64
  - .agpr_count:     0
    .args:
      - .offset:         0
        .size:           4
        .value_kind:     by_value
      - .offset:         4
        .size:           4
        .value_kind:     by_value
      - .offset:         8
        .size:           4
        .value_kind:     by_value
      - .offset:         12
        .size:           4
        .value_kind:     by_value
      - .offset:         16
        .size:           4
        .value_kind:     by_value
      - .offset:         24
        .size:           16
        .value_kind:     by_value
      - .address_space:  global
        .offset:         40
        .size:           8
        .value_kind:     global_buffer
      - .offset:         48
        .size:           8
        .value_kind:     by_value
      - .offset:         56
        .size:           4
        .value_kind:     by_value
      - .offset:         60
        .size:           4
        .value_kind:     by_value
      - .offset:         64
        .size:           8
        .value_kind:     by_value
      - .address_space:  global
        .offset:         72
        .size:           8
        .value_kind:     global_buffer
      - .offset:         80
        .size:           8
        .value_kind:     by_value
      - .offset:         88
        .size:           4
        .value_kind:     by_value
      - .offset:         92
        .size:           4
        .value_kind:     by_value
      - .offset:         96
        .size:           8
        .value_kind:     by_value
      - .offset:         104
        .size:           16
        .value_kind:     by_value
      - .address_space:  global
        .offset:         120
        .size:           8
        .value_kind:     global_buffer
      - .offset:         128
        .size:           8
        .value_kind:     by_value
      - .offset:         136
        .size:           4
        .value_kind:     by_value
      - .offset:         140
        .size:           4
        .value_kind:     by_value
      - .offset:         144
        .size:           8
        .value_kind:     by_value
      - .offset:         152
        .size:           4
        .value_kind:     hidden_block_count_x
      - .offset:         156
        .size:           4
        .value_kind:     hidden_block_count_y
      - .offset:         160
        .size:           4
        .value_kind:     hidden_block_count_z
      - .offset:         164
        .size:           2
        .value_kind:     hidden_group_size_x
      - .offset:         166
        .size:           2
        .value_kind:     hidden_group_size_y
      - .offset:         168
        .size:           2
        .value_kind:     hidden_group_size_z
      - .offset:         170
        .size:           2
        .value_kind:     hidden_remainder_x
      - .offset:         172
        .size:           2
        .value_kind:     hidden_remainder_y
      - .offset:         174
        .size:           2
        .value_kind:     hidden_remainder_z
      - .offset:         192
        .size:           8
        .value_kind:     hidden_global_offset_x
      - .offset:         200
        .size:           8
        .value_kind:     hidden_global_offset_y
      - .offset:         208
        .size:           8
        .value_kind:     hidden_global_offset_z
      - .offset:         216
        .size:           2
        .value_kind:     hidden_grid_dims
    .group_segment_fixed_size: 0
    .kernarg_segment_align: 8
    .kernarg_segment_size: 408
    .language:       OpenCL C
    .language_version:
      - 2
      - 0
    .max_flat_workgroup_size: 1024
    .name:           _ZN9rocsolver6v33100L16mfma_gemm_kernelI19rocblas_complex_numIdEiS3_PKPS3_S4_S4_EEv18rocblas_operation_S7_T0_S8_S8_T1_T2_lS8_S8_lT3_lS8_S8_lS9_T4_lS8_S8_l
    .private_segment_fixed_size: 0
    .sgpr_count:     49
    .sgpr_spill_count: 0
    .symbol:         _ZN9rocsolver6v33100L16mfma_gemm_kernelI19rocblas_complex_numIdEiS3_PKPS3_S4_S4_EEv18rocblas_operation_S7_T0_S8_S8_T1_T2_lS8_S8_lT3_lS8_S8_lS9_T4_lS8_S8_l.kd
    .uniform_work_group_size: 1
    .uses_dynamic_stack: false
    .vgpr_count:     62
    .vgpr_spill_count: 0
    .wavefront_size: 64
  - .agpr_count:     0
    .args:
      - .offset:         0
        .size:           4
        .value_kind:     by_value
      - .offset:         4
        .size:           4
        .value_kind:     by_value
      - .offset:         8
        .size:           4
        .value_kind:     by_value
      - .address_space:  global
        .offset:         16
        .size:           8
        .value_kind:     global_buffer
      - .offset:         24
        .size:           1
        .value_kind:     by_value
      - .address_space:  global
        .offset:         32
        .size:           8
        .value_kind:     global_buffer
      - .offset:         40
        .size:           8
        .value_kind:     by_value
      - .offset:         48
        .size:           4
        .value_kind:     by_value
      - .offset:         52
        .size:           4
        .value_kind:     by_value
      - .offset:         56
        .size:           8
        .value_kind:     by_value
      - .offset:         64
        .size:           1
        .value_kind:     by_value
      - .address_space:  global
        .offset:         72
        .size:           8
        .value_kind:     global_buffer
      - .offset:         80
        .size:           8
        .value_kind:     by_value
      - .offset:         88
        .size:           4
        .value_kind:     by_value
      - .offset:         92
        .size:           4
        .value_kind:     by_value
      - .offset:         96
        .size:           8
        .value_kind:     by_value
      - .address_space:  global
        .offset:         104
        .size:           8
        .value_kind:     global_buffer
      - .address_space:  global
        .offset:         112
        .size:           8
        .value_kind:     global_buffer
      - .offset:         120
        .size:           8
        .value_kind:     by_value
      - .offset:         128
        .size:           4
        .value_kind:     by_value
      - .offset:         132
        .size:           4
        .value_kind:     by_value
      - .offset:         136
        .size:           8
        .value_kind:     by_value
      - .offset:         144
        .size:           4
        .value_kind:     hidden_block_count_x
      - .offset:         148
        .size:           4
        .value_kind:     hidden_block_count_y
      - .offset:         152
        .size:           4
        .value_kind:     hidden_block_count_z
      - .offset:         156
        .size:           2
        .value_kind:     hidden_group_size_x
      - .offset:         158
        .size:           2
        .value_kind:     hidden_group_size_y
      - .offset:         160
        .size:           2
        .value_kind:     hidden_group_size_z
      - .offset:         162
        .size:           2
        .value_kind:     hidden_remainder_x
      - .offset:         164
        .size:           2
        .value_kind:     hidden_remainder_y
      - .offset:         166
        .size:           2
        .value_kind:     hidden_remainder_z
      - .offset:         184
        .size:           8
        .value_kind:     hidden_global_offset_x
      - .offset:         192
        .size:           8
        .value_kind:     hidden_global_offset_y
      - .offset:         200
        .size:           8
        .value_kind:     hidden_global_offset_z
      - .offset:         208
        .size:           2
        .value_kind:     hidden_grid_dims
    .group_segment_fixed_size: 0
    .kernarg_segment_align: 8
    .kernarg_segment_size: 400
    .language:       OpenCL C
    .language_version:
      - 2
      - 0
    .max_flat_workgroup_size: 1024
    .name:           _ZN9rocsolver6v33100L11gemm_kernelI19rocblas_complex_numIdEiPKS3_PKPS3_S6_S6_EEvT0_S9_S9_T1_bT2_lS9_S9_lbT3_lS9_S9_lSA_T4_lS9_S9_l
    .private_segment_fixed_size: 0
    .sgpr_count:     35
    .sgpr_spill_count: 0
    .symbol:         _ZN9rocsolver6v33100L11gemm_kernelI19rocblas_complex_numIdEiPKS3_PKPS3_S6_S6_EEvT0_S9_S9_T1_bT2_lS9_S9_lbT3_lS9_S9_lSA_T4_lS9_S9_l.kd
    .uniform_work_group_size: 1
    .uses_dynamic_stack: false
    .vgpr_count:     22
    .vgpr_spill_count: 0
    .wavefront_size: 64
  - .agpr_count:     0
    .args:
      - .offset:         0
        .size:           4
        .value_kind:     by_value
      - .offset:         4
        .size:           4
        .value_kind:     by_value
      - .offset:         8
        .size:           4
        .value_kind:     by_value
      - .offset:         16
        .size:           16
        .value_kind:     by_value
      - .offset:         32
        .size:           1
        .value_kind:     by_value
      - .address_space:  global
        .offset:         40
        .size:           8
        .value_kind:     global_buffer
      - .offset:         48
        .size:           8
        .value_kind:     by_value
      - .offset:         56
        .size:           4
        .value_kind:     by_value
      - .offset:         60
        .size:           4
        .value_kind:     by_value
      - .offset:         64
        .size:           8
        .value_kind:     by_value
      - .offset:         72
        .size:           1
        .value_kind:     by_value
      - .address_space:  global
        .offset:         80
        .size:           8
        .value_kind:     global_buffer
      - .offset:         88
        .size:           8
        .value_kind:     by_value
      - .offset:         96
        .size:           4
        .value_kind:     by_value
      - .offset:         100
        .size:           4
        .value_kind:     by_value
      - .offset:         104
        .size:           8
        .value_kind:     by_value
      - .offset:         112
        .size:           16
        .value_kind:     by_value
      - .address_space:  global
        .offset:         128
        .size:           8
        .value_kind:     global_buffer
      - .offset:         136
        .size:           8
        .value_kind:     by_value
      - .offset:         144
        .size:           4
        .value_kind:     by_value
      - .offset:         148
        .size:           4
        .value_kind:     by_value
      - .offset:         152
        .size:           8
        .value_kind:     by_value
      - .offset:         160
        .size:           4
        .value_kind:     hidden_block_count_x
      - .offset:         164
        .size:           4
        .value_kind:     hidden_block_count_y
      - .offset:         168
        .size:           4
        .value_kind:     hidden_block_count_z
      - .offset:         172
        .size:           2
        .value_kind:     hidden_group_size_x
      - .offset:         174
        .size:           2
        .value_kind:     hidden_group_size_y
      - .offset:         176
        .size:           2
        .value_kind:     hidden_group_size_z
      - .offset:         178
        .size:           2
        .value_kind:     hidden_remainder_x
      - .offset:         180
        .size:           2
        .value_kind:     hidden_remainder_y
      - .offset:         182
        .size:           2
        .value_kind:     hidden_remainder_z
      - .offset:         200
        .size:           8
        .value_kind:     hidden_global_offset_x
      - .offset:         208
        .size:           8
        .value_kind:     hidden_global_offset_y
      - .offset:         216
        .size:           8
        .value_kind:     hidden_global_offset_z
      - .offset:         224
        .size:           2
        .value_kind:     hidden_grid_dims
    .group_segment_fixed_size: 0
    .kernarg_segment_align: 8
    .kernarg_segment_size: 416
    .language:       OpenCL C
    .language_version:
      - 2
      - 0
    .max_flat_workgroup_size: 1024
    .name:           _ZN9rocsolver6v33100L11gemm_kernelI19rocblas_complex_numIdEiS3_PKPS3_S4_S4_EEvT0_S7_S7_T1_bT2_lS7_S7_lbT3_lS7_S7_lS8_T4_lS7_S7_l
    .private_segment_fixed_size: 0
    .sgpr_count:     35
    .sgpr_spill_count: 0
    .symbol:         _ZN9rocsolver6v33100L11gemm_kernelI19rocblas_complex_numIdEiS3_PKPS3_S4_S4_EEvT0_S7_S7_T1_bT2_lS7_S7_lbT3_lS7_S7_lS8_T4_lS7_S7_l.kd
    .uniform_work_group_size: 1
    .uses_dynamic_stack: false
    .vgpr_count:     22
    .vgpr_spill_count: 0
    .wavefront_size: 64
  - .agpr_count:     0
    .args:
      - .offset:         0
        .size:           4
        .value_kind:     by_value
      - .offset:         4
        .size:           4
        .value_kind:     by_value
      - .offset:         8
        .size:           4
        .value_kind:     by_value
      - .offset:         12
        .size:           4
        .value_kind:     by_value
      - .offset:         16
        .size:           4
        .value_kind:     by_value
      - .address_space:  global
        .offset:         24
        .size:           8
        .value_kind:     global_buffer
      - .address_space:  global
        .offset:         32
        .size:           8
        .value_kind:     global_buffer
      - .offset:         40
        .size:           8
        .value_kind:     by_value
      - .offset:         48
        .size:           4
        .value_kind:     by_value
      - .offset:         52
        .size:           4
        .value_kind:     by_value
      - .offset:         56
        .size:           8
        .value_kind:     by_value
      - .address_space:  global
        .offset:         64
        .size:           8
        .value_kind:     global_buffer
      - .offset:         72
        .size:           8
        .value_kind:     by_value
      - .offset:         80
        .size:           4
        .value_kind:     by_value
      - .offset:         84
        .size:           4
        .value_kind:     by_value
      - .offset:         88
        .size:           8
        .value_kind:     by_value
      - .address_space:  global
        .offset:         96
        .size:           8
        .value_kind:     global_buffer
      - .address_space:  global
        .offset:         104
        .size:           8
        .value_kind:     global_buffer
      - .offset:         112
        .size:           8
        .value_kind:     by_value
      - .offset:         120
        .size:           4
        .value_kind:     by_value
      - .offset:         124
        .size:           4
        .value_kind:     by_value
      - .offset:         128
        .size:           8
        .value_kind:     by_value
      - .offset:         136
        .size:           4
        .value_kind:     hidden_block_count_x
      - .offset:         140
        .size:           4
        .value_kind:     hidden_block_count_y
      - .offset:         144
        .size:           4
        .value_kind:     hidden_block_count_z
      - .offset:         148
        .size:           2
        .value_kind:     hidden_group_size_x
      - .offset:         150
        .size:           2
        .value_kind:     hidden_group_size_y
      - .offset:         152
        .size:           2
        .value_kind:     hidden_group_size_z
      - .offset:         154
        .size:           2
        .value_kind:     hidden_remainder_x
      - .offset:         156
        .size:           2
        .value_kind:     hidden_remainder_y
      - .offset:         158
        .size:           2
        .value_kind:     hidden_remainder_z
      - .offset:         176
        .size:           8
        .value_kind:     hidden_global_offset_x
      - .offset:         184
        .size:           8
        .value_kind:     hidden_global_offset_y
      - .offset:         192
        .size:           8
        .value_kind:     hidden_global_offset_z
      - .offset:         200
        .size:           2
        .value_kind:     hidden_grid_dims
    .group_segment_fixed_size: 0
    .kernarg_segment_align: 8
    .kernarg_segment_size: 392
    .language:       OpenCL C
    .language_version:
      - 2
      - 0
    .max_flat_workgroup_size: 1024
    .name:           _ZN9rocsolver6v33100L16mfma_gemm_kernelI19rocblas_complex_numIdEiPKS3_PS3_PKS6_S6_EEv18rocblas_operation_S9_T0_SA_SA_T1_T2_lSA_SA_lT3_lSA_SA_lSB_T4_lSA_SA_l
    .private_segment_fixed_size: 0
    .sgpr_count:     52
    .sgpr_spill_count: 0
    .symbol:         _ZN9rocsolver6v33100L16mfma_gemm_kernelI19rocblas_complex_numIdEiPKS3_PS3_PKS6_S6_EEv18rocblas_operation_S9_T0_SA_SA_T1_T2_lSA_SA_lT3_lSA_SA_lSB_T4_lSA_SA_l.kd
    .uniform_work_group_size: 1
    .uses_dynamic_stack: false
    .vgpr_count:     62
    .vgpr_spill_count: 0
    .wavefront_size: 64
  - .agpr_count:     0
    .args:
      - .offset:         0
        .size:           4
        .value_kind:     by_value
      - .offset:         4
        .size:           4
        .value_kind:     by_value
      - .offset:         8
        .size:           4
        .value_kind:     by_value
      - .offset:         12
        .size:           4
        .value_kind:     by_value
      - .offset:         16
        .size:           4
        .value_kind:     by_value
      - .offset:         24
        .size:           16
        .value_kind:     by_value
      - .address_space:  global
        .offset:         40
        .size:           8
        .value_kind:     global_buffer
      - .offset:         48
        .size:           8
        .value_kind:     by_value
      - .offset:         56
        .size:           4
        .value_kind:     by_value
      - .offset:         60
        .size:           4
        .value_kind:     by_value
      - .offset:         64
        .size:           8
        .value_kind:     by_value
      - .address_space:  global
        .offset:         72
        .size:           8
        .value_kind:     global_buffer
      - .offset:         80
        .size:           8
        .value_kind:     by_value
      - .offset:         88
        .size:           4
        .value_kind:     by_value
      - .offset:         92
        .size:           4
        .value_kind:     by_value
      - .offset:         96
        .size:           8
        .value_kind:     by_value
      - .offset:         104
        .size:           16
        .value_kind:     by_value
      - .address_space:  global
        .offset:         120
        .size:           8
        .value_kind:     global_buffer
      - .offset:         128
        .size:           8
        .value_kind:     by_value
      - .offset:         136
        .size:           4
        .value_kind:     by_value
      - .offset:         140
        .size:           4
        .value_kind:     by_value
      - .offset:         144
        .size:           8
        .value_kind:     by_value
      - .offset:         152
        .size:           4
        .value_kind:     hidden_block_count_x
      - .offset:         156
        .size:           4
        .value_kind:     hidden_block_count_y
      - .offset:         160
        .size:           4
        .value_kind:     hidden_block_count_z
      - .offset:         164
        .size:           2
        .value_kind:     hidden_group_size_x
      - .offset:         166
        .size:           2
        .value_kind:     hidden_group_size_y
      - .offset:         168
        .size:           2
        .value_kind:     hidden_group_size_z
      - .offset:         170
        .size:           2
        .value_kind:     hidden_remainder_x
      - .offset:         172
        .size:           2
        .value_kind:     hidden_remainder_y
      - .offset:         174
        .size:           2
        .value_kind:     hidden_remainder_z
      - .offset:         192
        .size:           8
        .value_kind:     hidden_global_offset_x
      - .offset:         200
        .size:           8
        .value_kind:     hidden_global_offset_y
      - .offset:         208
        .size:           8
        .value_kind:     hidden_global_offset_z
      - .offset:         216
        .size:           2
        .value_kind:     hidden_grid_dims
    .group_segment_fixed_size: 0
    .kernarg_segment_align: 8
    .kernarg_segment_size: 408
    .language:       OpenCL C
    .language_version:
      - 2
      - 0
    .max_flat_workgroup_size: 1024
    .name:           _ZN9rocsolver6v33100L16mfma_gemm_kernelI19rocblas_complex_numIdEiS3_PS3_PKS4_S4_EEv18rocblas_operation_S7_T0_S8_S8_T1_T2_lS8_S8_lT3_lS8_S8_lS9_T4_lS8_S8_l
    .private_segment_fixed_size: 0
    .sgpr_count:     44
    .sgpr_spill_count: 0
    .symbol:         _ZN9rocsolver6v33100L16mfma_gemm_kernelI19rocblas_complex_numIdEiS3_PS3_PKS4_S4_EEv18rocblas_operation_S7_T0_S8_S8_T1_T2_lS8_S8_lT3_lS8_S8_lS9_T4_lS8_S8_l.kd
    .uniform_work_group_size: 1
    .uses_dynamic_stack: false
    .vgpr_count:     62
    .vgpr_spill_count: 0
    .wavefront_size: 64
  - .agpr_count:     0
    .args:
      - .offset:         0
        .size:           4
        .value_kind:     by_value
      - .offset:         4
        .size:           4
        .value_kind:     by_value
      - .offset:         8
        .size:           4
        .value_kind:     by_value
      - .address_space:  global
        .offset:         16
        .size:           8
        .value_kind:     global_buffer
      - .offset:         24
        .size:           1
        .value_kind:     by_value
      - .address_space:  global
        .offset:         32
        .size:           8
        .value_kind:     global_buffer
      - .offset:         40
        .size:           8
        .value_kind:     by_value
      - .offset:         48
        .size:           4
        .value_kind:     by_value
      - .offset:         52
        .size:           4
        .value_kind:     by_value
      - .offset:         56
        .size:           8
        .value_kind:     by_value
      - .offset:         64
        .size:           1
        .value_kind:     by_value
      - .address_space:  global
        .offset:         72
        .size:           8
        .value_kind:     global_buffer
      - .offset:         80
        .size:           8
        .value_kind:     by_value
      - .offset:         88
        .size:           4
        .value_kind:     by_value
      - .offset:         92
        .size:           4
        .value_kind:     by_value
      - .offset:         96
        .size:           8
        .value_kind:     by_value
      - .address_space:  global
        .offset:         104
        .size:           8
        .value_kind:     global_buffer
      - .address_space:  global
        .offset:         112
        .size:           8
        .value_kind:     global_buffer
      - .offset:         120
        .size:           8
        .value_kind:     by_value
      - .offset:         128
        .size:           4
        .value_kind:     by_value
      - .offset:         132
        .size:           4
        .value_kind:     by_value
      - .offset:         136
        .size:           8
        .value_kind:     by_value
      - .offset:         144
        .size:           4
        .value_kind:     hidden_block_count_x
      - .offset:         148
        .size:           4
        .value_kind:     hidden_block_count_y
      - .offset:         152
        .size:           4
        .value_kind:     hidden_block_count_z
      - .offset:         156
        .size:           2
        .value_kind:     hidden_group_size_x
      - .offset:         158
        .size:           2
        .value_kind:     hidden_group_size_y
      - .offset:         160
        .size:           2
        .value_kind:     hidden_group_size_z
      - .offset:         162
        .size:           2
        .value_kind:     hidden_remainder_x
      - .offset:         164
        .size:           2
        .value_kind:     hidden_remainder_y
      - .offset:         166
        .size:           2
        .value_kind:     hidden_remainder_z
      - .offset:         184
        .size:           8
        .value_kind:     hidden_global_offset_x
      - .offset:         192
        .size:           8
        .value_kind:     hidden_global_offset_y
      - .offset:         200
        .size:           8
        .value_kind:     hidden_global_offset_z
      - .offset:         208
        .size:           2
        .value_kind:     hidden_grid_dims
    .group_segment_fixed_size: 0
    .kernarg_segment_align: 8
    .kernarg_segment_size: 400
    .language:       OpenCL C
    .language_version:
      - 2
      - 0
    .max_flat_workgroup_size: 1024
    .name:           _ZN9rocsolver6v33100L11gemm_kernelI19rocblas_complex_numIdEiPKS3_PS3_PKS6_S6_EEvT0_S9_S9_T1_bT2_lS9_S9_lbT3_lS9_S9_lSA_T4_lS9_S9_l
    .private_segment_fixed_size: 0
    .sgpr_count:     36
    .sgpr_spill_count: 0
    .symbol:         _ZN9rocsolver6v33100L11gemm_kernelI19rocblas_complex_numIdEiPKS3_PS3_PKS6_S6_EEvT0_S9_S9_T1_bT2_lS9_S9_lbT3_lS9_S9_lSA_T4_lS9_S9_l.kd
    .uniform_work_group_size: 1
    .uses_dynamic_stack: false
    .vgpr_count:     22
    .vgpr_spill_count: 0
    .wavefront_size: 64
  - .agpr_count:     0
    .args:
      - .offset:         0
        .size:           4
        .value_kind:     by_value
      - .offset:         4
        .size:           4
        .value_kind:     by_value
      - .offset:         8
        .size:           4
        .value_kind:     by_value
      - .offset:         16
        .size:           16
        .value_kind:     by_value
      - .offset:         32
        .size:           1
        .value_kind:     by_value
      - .address_space:  global
        .offset:         40
        .size:           8
        .value_kind:     global_buffer
      - .offset:         48
        .size:           8
        .value_kind:     by_value
      - .offset:         56
        .size:           4
        .value_kind:     by_value
      - .offset:         60
        .size:           4
        .value_kind:     by_value
      - .offset:         64
        .size:           8
        .value_kind:     by_value
      - .offset:         72
        .size:           1
        .value_kind:     by_value
      - .address_space:  global
        .offset:         80
        .size:           8
        .value_kind:     global_buffer
      - .offset:         88
        .size:           8
        .value_kind:     by_value
      - .offset:         96
        .size:           4
        .value_kind:     by_value
      - .offset:         100
        .size:           4
        .value_kind:     by_value
      - .offset:         104
        .size:           8
        .value_kind:     by_value
      - .offset:         112
        .size:           16
        .value_kind:     by_value
      - .address_space:  global
        .offset:         128
        .size:           8
        .value_kind:     global_buffer
      - .offset:         136
        .size:           8
        .value_kind:     by_value
      - .offset:         144
        .size:           4
        .value_kind:     by_value
      - .offset:         148
        .size:           4
        .value_kind:     by_value
      - .offset:         152
        .size:           8
        .value_kind:     by_value
      - .offset:         160
        .size:           4
        .value_kind:     hidden_block_count_x
      - .offset:         164
        .size:           4
        .value_kind:     hidden_block_count_y
      - .offset:         168
        .size:           4
        .value_kind:     hidden_block_count_z
      - .offset:         172
        .size:           2
        .value_kind:     hidden_group_size_x
      - .offset:         174
        .size:           2
        .value_kind:     hidden_group_size_y
      - .offset:         176
        .size:           2
        .value_kind:     hidden_group_size_z
      - .offset:         178
        .size:           2
        .value_kind:     hidden_remainder_x
      - .offset:         180
        .size:           2
        .value_kind:     hidden_remainder_y
      - .offset:         182
        .size:           2
        .value_kind:     hidden_remainder_z
      - .offset:         200
        .size:           8
        .value_kind:     hidden_global_offset_x
      - .offset:         208
        .size:           8
        .value_kind:     hidden_global_offset_y
      - .offset:         216
        .size:           8
        .value_kind:     hidden_global_offset_z
      - .offset:         224
        .size:           2
        .value_kind:     hidden_grid_dims
    .group_segment_fixed_size: 0
    .kernarg_segment_align: 8
    .kernarg_segment_size: 416
    .language:       OpenCL C
    .language_version:
      - 2
      - 0
    .max_flat_workgroup_size: 1024
    .name:           _ZN9rocsolver6v33100L11gemm_kernelI19rocblas_complex_numIdEiS3_PS3_PKS4_S4_EEvT0_S7_S7_T1_bT2_lS7_S7_lbT3_lS7_S7_lS8_T4_lS7_S7_l
    .private_segment_fixed_size: 0
    .sgpr_count:     32
    .sgpr_spill_count: 0
    .symbol:         _ZN9rocsolver6v33100L11gemm_kernelI19rocblas_complex_numIdEiS3_PS3_PKS4_S4_EEvT0_S7_S7_T1_bT2_lS7_S7_lbT3_lS7_S7_lS8_T4_lS7_S7_l.kd
    .uniform_work_group_size: 1
    .uses_dynamic_stack: false
    .vgpr_count:     22
    .vgpr_spill_count: 0
    .wavefront_size: 64
  - .agpr_count:     0
    .args:
      - .offset:         0
        .size:           4
        .value_kind:     by_value
      - .offset:         4
        .size:           4
        .value_kind:     by_value
      - .offset:         8
        .size:           4
        .value_kind:     by_value
      - .offset:         12
        .size:           4
        .value_kind:     by_value
      - .offset:         16
        .size:           4
        .value_kind:     by_value
      - .address_space:  global
        .offset:         24
        .size:           8
        .value_kind:     global_buffer
      - .address_space:  global
        .offset:         32
        .size:           8
        .value_kind:     global_buffer
      - .offset:         40
        .size:           8
        .value_kind:     by_value
      - .offset:         48
        .size:           4
        .value_kind:     by_value
      - .offset:         52
        .size:           4
        .value_kind:     by_value
      - .offset:         56
        .size:           8
        .value_kind:     by_value
      - .address_space:  global
        .offset:         64
        .size:           8
        .value_kind:     global_buffer
      - .offset:         72
        .size:           8
        .value_kind:     by_value
      - .offset:         80
        .size:           4
        .value_kind:     by_value
      - .offset:         84
        .size:           4
        .value_kind:     by_value
      - .offset:         88
        .size:           8
        .value_kind:     by_value
      - .address_space:  global
        .offset:         96
        .size:           8
        .value_kind:     global_buffer
      - .address_space:  global
        .offset:         104
        .size:           8
        .value_kind:     global_buffer
      - .offset:         112
        .size:           8
        .value_kind:     by_value
      - .offset:         120
        .size:           4
        .value_kind:     by_value
      - .offset:         124
        .size:           4
        .value_kind:     by_value
      - .offset:         128
        .size:           8
        .value_kind:     by_value
      - .offset:         136
        .size:           4
        .value_kind:     hidden_block_count_x
      - .offset:         140
        .size:           4
        .value_kind:     hidden_block_count_y
      - .offset:         144
        .size:           4
        .value_kind:     hidden_block_count_z
      - .offset:         148
        .size:           2
        .value_kind:     hidden_group_size_x
      - .offset:         150
        .size:           2
        .value_kind:     hidden_group_size_y
      - .offset:         152
        .size:           2
        .value_kind:     hidden_group_size_z
      - .offset:         154
        .size:           2
        .value_kind:     hidden_remainder_x
      - .offset:         156
        .size:           2
        .value_kind:     hidden_remainder_y
      - .offset:         158
        .size:           2
        .value_kind:     hidden_remainder_z
      - .offset:         176
        .size:           8
        .value_kind:     hidden_global_offset_x
      - .offset:         184
        .size:           8
        .value_kind:     hidden_global_offset_y
      - .offset:         192
        .size:           8
        .value_kind:     hidden_global_offset_z
      - .offset:         200
        .size:           2
        .value_kind:     hidden_grid_dims
    .group_segment_fixed_size: 0
    .kernarg_segment_align: 8
    .kernarg_segment_size: 392
    .language:       OpenCL C
    .language_version:
      - 2
      - 0
    .max_flat_workgroup_size: 1024
    .name:           _ZN9rocsolver6v33100L16mfma_gemm_kernelI19rocblas_complex_numIdEiPKS3_PS3_S6_PKS6_EEv18rocblas_operation_S9_T0_SA_SA_T1_T2_lSA_SA_lT3_lSA_SA_lSB_T4_lSA_SA_l
    .private_segment_fixed_size: 0
    .sgpr_count:     52
    .sgpr_spill_count: 0
    .symbol:         _ZN9rocsolver6v33100L16mfma_gemm_kernelI19rocblas_complex_numIdEiPKS3_PS3_S6_PKS6_EEv18rocblas_operation_S9_T0_SA_SA_T1_T2_lSA_SA_lT3_lSA_SA_lSB_T4_lSA_SA_l.kd
    .uniform_work_group_size: 1
    .uses_dynamic_stack: false
    .vgpr_count:     62
    .vgpr_spill_count: 0
    .wavefront_size: 64
  - .agpr_count:     0
    .args:
      - .offset:         0
        .size:           4
        .value_kind:     by_value
      - .offset:         4
        .size:           4
        .value_kind:     by_value
      - .offset:         8
        .size:           4
        .value_kind:     by_value
      - .offset:         12
        .size:           4
        .value_kind:     by_value
      - .offset:         16
        .size:           4
        .value_kind:     by_value
      - .offset:         24
        .size:           16
        .value_kind:     by_value
      - .address_space:  global
        .offset:         40
        .size:           8
        .value_kind:     global_buffer
      - .offset:         48
        .size:           8
        .value_kind:     by_value
      - .offset:         56
        .size:           4
        .value_kind:     by_value
      - .offset:         60
        .size:           4
        .value_kind:     by_value
      - .offset:         64
        .size:           8
        .value_kind:     by_value
      - .address_space:  global
        .offset:         72
        .size:           8
        .value_kind:     global_buffer
      - .offset:         80
        .size:           8
        .value_kind:     by_value
      - .offset:         88
        .size:           4
        .value_kind:     by_value
      - .offset:         92
        .size:           4
        .value_kind:     by_value
      - .offset:         96
        .size:           8
        .value_kind:     by_value
      - .offset:         104
        .size:           16
        .value_kind:     by_value
      - .address_space:  global
        .offset:         120
        .size:           8
        .value_kind:     global_buffer
      - .offset:         128
        .size:           8
        .value_kind:     by_value
      - .offset:         136
        .size:           4
        .value_kind:     by_value
      - .offset:         140
        .size:           4
        .value_kind:     by_value
      - .offset:         144
        .size:           8
        .value_kind:     by_value
      - .offset:         152
        .size:           4
        .value_kind:     hidden_block_count_x
      - .offset:         156
        .size:           4
        .value_kind:     hidden_block_count_y
      - .offset:         160
        .size:           4
        .value_kind:     hidden_block_count_z
      - .offset:         164
        .size:           2
        .value_kind:     hidden_group_size_x
      - .offset:         166
        .size:           2
        .value_kind:     hidden_group_size_y
      - .offset:         168
        .size:           2
        .value_kind:     hidden_group_size_z
      - .offset:         170
        .size:           2
        .value_kind:     hidden_remainder_x
      - .offset:         172
        .size:           2
        .value_kind:     hidden_remainder_y
      - .offset:         174
        .size:           2
        .value_kind:     hidden_remainder_z
      - .offset:         192
        .size:           8
        .value_kind:     hidden_global_offset_x
      - .offset:         200
        .size:           8
        .value_kind:     hidden_global_offset_y
      - .offset:         208
        .size:           8
        .value_kind:     hidden_global_offset_z
      - .offset:         216
        .size:           2
        .value_kind:     hidden_grid_dims
    .group_segment_fixed_size: 0
    .kernarg_segment_align: 8
    .kernarg_segment_size: 408
    .language:       OpenCL C
    .language_version:
      - 2
      - 0
    .max_flat_workgroup_size: 1024
    .name:           _ZN9rocsolver6v33100L16mfma_gemm_kernelI19rocblas_complex_numIdEiS3_PS3_S4_PKS4_EEv18rocblas_operation_S7_T0_S8_S8_T1_T2_lS8_S8_lT3_lS8_S8_lS9_T4_lS8_S8_l
    .private_segment_fixed_size: 0
    .sgpr_count:     48
    .sgpr_spill_count: 0
    .symbol:         _ZN9rocsolver6v33100L16mfma_gemm_kernelI19rocblas_complex_numIdEiS3_PS3_S4_PKS4_EEv18rocblas_operation_S7_T0_S8_S8_T1_T2_lS8_S8_lT3_lS8_S8_lS9_T4_lS8_S8_l.kd
    .uniform_work_group_size: 1
    .uses_dynamic_stack: false
    .vgpr_count:     62
    .vgpr_spill_count: 0
    .wavefront_size: 64
  - .agpr_count:     0
    .args:
      - .offset:         0
        .size:           4
        .value_kind:     by_value
      - .offset:         4
        .size:           4
        .value_kind:     by_value
      - .offset:         8
        .size:           4
        .value_kind:     by_value
      - .address_space:  global
        .offset:         16
        .size:           8
        .value_kind:     global_buffer
      - .offset:         24
        .size:           1
        .value_kind:     by_value
      - .address_space:  global
        .offset:         32
        .size:           8
        .value_kind:     global_buffer
      - .offset:         40
        .size:           8
        .value_kind:     by_value
      - .offset:         48
        .size:           4
        .value_kind:     by_value
      - .offset:         52
        .size:           4
        .value_kind:     by_value
      - .offset:         56
        .size:           8
        .value_kind:     by_value
      - .offset:         64
        .size:           1
        .value_kind:     by_value
      - .address_space:  global
        .offset:         72
        .size:           8
        .value_kind:     global_buffer
      - .offset:         80
        .size:           8
        .value_kind:     by_value
      - .offset:         88
        .size:           4
        .value_kind:     by_value
      - .offset:         92
        .size:           4
        .value_kind:     by_value
      - .offset:         96
        .size:           8
        .value_kind:     by_value
      - .address_space:  global
        .offset:         104
        .size:           8
        .value_kind:     global_buffer
      - .address_space:  global
        .offset:         112
        .size:           8
        .value_kind:     global_buffer
      - .offset:         120
        .size:           8
        .value_kind:     by_value
      - .offset:         128
        .size:           4
        .value_kind:     by_value
      - .offset:         132
        .size:           4
        .value_kind:     by_value
      - .offset:         136
        .size:           8
        .value_kind:     by_value
      - .offset:         144
        .size:           4
        .value_kind:     hidden_block_count_x
      - .offset:         148
        .size:           4
        .value_kind:     hidden_block_count_y
      - .offset:         152
        .size:           4
        .value_kind:     hidden_block_count_z
      - .offset:         156
        .size:           2
        .value_kind:     hidden_group_size_x
      - .offset:         158
        .size:           2
        .value_kind:     hidden_group_size_y
      - .offset:         160
        .size:           2
        .value_kind:     hidden_group_size_z
      - .offset:         162
        .size:           2
        .value_kind:     hidden_remainder_x
      - .offset:         164
        .size:           2
        .value_kind:     hidden_remainder_y
      - .offset:         166
        .size:           2
        .value_kind:     hidden_remainder_z
      - .offset:         184
        .size:           8
        .value_kind:     hidden_global_offset_x
      - .offset:         192
        .size:           8
        .value_kind:     hidden_global_offset_y
      - .offset:         200
        .size:           8
        .value_kind:     hidden_global_offset_z
      - .offset:         208
        .size:           2
        .value_kind:     hidden_grid_dims
    .group_segment_fixed_size: 0
    .kernarg_segment_align: 8
    .kernarg_segment_size: 400
    .language:       OpenCL C
    .language_version:
      - 2
      - 0
    .max_flat_workgroup_size: 1024
    .name:           _ZN9rocsolver6v33100L11gemm_kernelI19rocblas_complex_numIdEiPKS3_PS3_S6_PKS6_EEvT0_S9_S9_T1_bT2_lS9_S9_lbT3_lS9_S9_lSA_T4_lS9_S9_l
    .private_segment_fixed_size: 0
    .sgpr_count:     44
    .sgpr_spill_count: 0
    .symbol:         _ZN9rocsolver6v33100L11gemm_kernelI19rocblas_complex_numIdEiPKS3_PS3_S6_PKS6_EEvT0_S9_S9_T1_bT2_lS9_S9_lbT3_lS9_S9_lSA_T4_lS9_S9_l.kd
    .uniform_work_group_size: 1
    .uses_dynamic_stack: false
    .vgpr_count:     22
    .vgpr_spill_count: 0
    .wavefront_size: 64
  - .agpr_count:     0
    .args:
      - .offset:         0
        .size:           4
        .value_kind:     by_value
      - .offset:         4
        .size:           4
        .value_kind:     by_value
      - .offset:         8
        .size:           4
        .value_kind:     by_value
      - .offset:         16
        .size:           16
        .value_kind:     by_value
      - .offset:         32
        .size:           1
        .value_kind:     by_value
      - .address_space:  global
        .offset:         40
        .size:           8
        .value_kind:     global_buffer
      - .offset:         48
        .size:           8
        .value_kind:     by_value
      - .offset:         56
        .size:           4
        .value_kind:     by_value
      - .offset:         60
        .size:           4
        .value_kind:     by_value
      - .offset:         64
        .size:           8
        .value_kind:     by_value
      - .offset:         72
        .size:           1
        .value_kind:     by_value
      - .address_space:  global
        .offset:         80
        .size:           8
        .value_kind:     global_buffer
      - .offset:         88
        .size:           8
        .value_kind:     by_value
      - .offset:         96
        .size:           4
        .value_kind:     by_value
      - .offset:         100
        .size:           4
        .value_kind:     by_value
      - .offset:         104
        .size:           8
        .value_kind:     by_value
      - .offset:         112
        .size:           16
        .value_kind:     by_value
      - .address_space:  global
        .offset:         128
        .size:           8
        .value_kind:     global_buffer
      - .offset:         136
        .size:           8
        .value_kind:     by_value
      - .offset:         144
        .size:           4
        .value_kind:     by_value
      - .offset:         148
        .size:           4
        .value_kind:     by_value
      - .offset:         152
        .size:           8
        .value_kind:     by_value
      - .offset:         160
        .size:           4
        .value_kind:     hidden_block_count_x
      - .offset:         164
        .size:           4
        .value_kind:     hidden_block_count_y
      - .offset:         168
        .size:           4
        .value_kind:     hidden_block_count_z
      - .offset:         172
        .size:           2
        .value_kind:     hidden_group_size_x
      - .offset:         174
        .size:           2
        .value_kind:     hidden_group_size_y
      - .offset:         176
        .size:           2
        .value_kind:     hidden_group_size_z
      - .offset:         178
        .size:           2
        .value_kind:     hidden_remainder_x
      - .offset:         180
        .size:           2
        .value_kind:     hidden_remainder_y
      - .offset:         182
        .size:           2
        .value_kind:     hidden_remainder_z
      - .offset:         200
        .size:           8
        .value_kind:     hidden_global_offset_x
      - .offset:         208
        .size:           8
        .value_kind:     hidden_global_offset_y
      - .offset:         216
        .size:           8
        .value_kind:     hidden_global_offset_z
      - .offset:         224
        .size:           2
        .value_kind:     hidden_grid_dims
    .group_segment_fixed_size: 0
    .kernarg_segment_align: 8
    .kernarg_segment_size: 416
    .language:       OpenCL C
    .language_version:
      - 2
      - 0
    .max_flat_workgroup_size: 1024
    .name:           _ZN9rocsolver6v33100L11gemm_kernelI19rocblas_complex_numIdEiS3_PS3_S4_PKS4_EEvT0_S7_S7_T1_bT2_lS7_S7_lbT3_lS7_S7_lS8_T4_lS7_S7_l
    .private_segment_fixed_size: 0
    .sgpr_count:     44
    .sgpr_spill_count: 0
    .symbol:         _ZN9rocsolver6v33100L11gemm_kernelI19rocblas_complex_numIdEiS3_PS3_S4_PKS4_EEvT0_S7_S7_T1_bT2_lS7_S7_lbT3_lS7_S7_lS8_T4_lS7_S7_l.kd
    .uniform_work_group_size: 1
    .uses_dynamic_stack: false
    .vgpr_count:     22
    .vgpr_spill_count: 0
    .wavefront_size: 64
  - .agpr_count:     0
    .args:
      - .offset:         0
        .size:           4
        .value_kind:     by_value
      - .offset:         4
        .size:           4
        .value_kind:     by_value
      - .offset:         8
        .size:           8
        .value_kind:     by_value
      - .offset:         16
        .size:           8
        .value_kind:     by_value
      - .offset:         24
        .size:           8
        .value_kind:     by_value
      - .address_space:  global
        .offset:         32
        .size:           8
        .value_kind:     global_buffer
      - .address_space:  global
        .offset:         40
        .size:           8
        .value_kind:     global_buffer
      - .offset:         48
        .size:           8
        .value_kind:     by_value
      - .offset:         56
        .size:           8
        .value_kind:     by_value
      - .offset:         64
        .size:           8
        .value_kind:     by_value
      - .offset:         72
        .size:           8
        .value_kind:     by_value
      - .address_space:  global
        .offset:         80
        .size:           8
        .value_kind:     global_buffer
      - .offset:         88
        .size:           8
        .value_kind:     by_value
      - .offset:         96
        .size:           8
        .value_kind:     by_value
      - .offset:         104
        .size:           8
        .value_kind:     by_value
      - .offset:         112
        .size:           8
        .value_kind:     by_value
      - .address_space:  global
        .offset:         120
        .size:           8
        .value_kind:     global_buffer
      - .address_space:  global
        .offset:         128
        .size:           8
        .value_kind:     global_buffer
      - .offset:         136
        .size:           8
        .value_kind:     by_value
      - .offset:         144
        .size:           8
        .value_kind:     by_value
      - .offset:         152
        .size:           8
        .value_kind:     by_value
      - .offset:         160
        .size:           8
        .value_kind:     by_value
      - .offset:         168
        .size:           4
        .value_kind:     hidden_block_count_x
      - .offset:         172
        .size:           4
        .value_kind:     hidden_block_count_y
      - .offset:         176
        .size:           4
        .value_kind:     hidden_block_count_z
      - .offset:         180
        .size:           2
        .value_kind:     hidden_group_size_x
      - .offset:         182
        .size:           2
        .value_kind:     hidden_group_size_y
      - .offset:         184
        .size:           2
        .value_kind:     hidden_group_size_z
      - .offset:         186
        .size:           2
        .value_kind:     hidden_remainder_x
      - .offset:         188
        .size:           2
        .value_kind:     hidden_remainder_y
      - .offset:         190
        .size:           2
        .value_kind:     hidden_remainder_z
      - .offset:         208
        .size:           8
        .value_kind:     hidden_global_offset_x
      - .offset:         216
        .size:           8
        .value_kind:     hidden_global_offset_y
      - .offset:         224
        .size:           8
        .value_kind:     hidden_global_offset_z
      - .offset:         232
        .size:           2
        .value_kind:     hidden_grid_dims
    .group_segment_fixed_size: 0
    .kernarg_segment_align: 8
    .kernarg_segment_size: 424
    .language:       OpenCL C
    .language_version:
      - 2
      - 0
    .max_flat_workgroup_size: 1024
    .name:           _ZN9rocsolver6v33100L16mfma_gemm_kernelI19rocblas_complex_numIdElPKS3_PS3_S6_S6_EEv18rocblas_operation_S7_T0_S8_S8_T1_T2_lS8_S8_lT3_lS8_S8_lS9_T4_lS8_S8_l
    .private_segment_fixed_size: 0
    .sgpr_count:     64
    .sgpr_spill_count: 0
    .symbol:         _ZN9rocsolver6v33100L16mfma_gemm_kernelI19rocblas_complex_numIdElPKS3_PS3_S6_S6_EEv18rocblas_operation_S7_T0_S8_S8_T1_T2_lS8_S8_lT3_lS8_S8_lS9_T4_lS8_S8_l.kd
    .uniform_work_group_size: 1
    .uses_dynamic_stack: false
    .vgpr_count:     70
    .vgpr_spill_count: 0
    .wavefront_size: 64
  - .agpr_count:     0
    .args:
      - .offset:         0
        .size:           4
        .value_kind:     by_value
      - .offset:         4
        .size:           4
        .value_kind:     by_value
      - .offset:         8
        .size:           8
        .value_kind:     by_value
      - .offset:         16
        .size:           8
        .value_kind:     by_value
      - .offset:         24
        .size:           8
        .value_kind:     by_value
      - .offset:         32
        .size:           16
        .value_kind:     by_value
      - .address_space:  global
        .offset:         48
        .size:           8
        .value_kind:     global_buffer
      - .offset:         56
        .size:           8
        .value_kind:     by_value
      - .offset:         64
        .size:           8
        .value_kind:     by_value
      - .offset:         72
        .size:           8
        .value_kind:     by_value
      - .offset:         80
        .size:           8
        .value_kind:     by_value
      - .address_space:  global
        .offset:         88
        .size:           8
        .value_kind:     global_buffer
      - .offset:         96
        .size:           8
        .value_kind:     by_value
      - .offset:         104
        .size:           8
        .value_kind:     by_value
      - .offset:         112
        .size:           8
        .value_kind:     by_value
      - .offset:         120
        .size:           8
        .value_kind:     by_value
      - .offset:         128
        .size:           16
        .value_kind:     by_value
      - .address_space:  global
        .offset:         144
        .size:           8
        .value_kind:     global_buffer
      - .offset:         152
        .size:           8
        .value_kind:     by_value
      - .offset:         160
        .size:           8
        .value_kind:     by_value
      - .offset:         168
        .size:           8
        .value_kind:     by_value
      - .offset:         176
        .size:           8
        .value_kind:     by_value
      - .offset:         184
        .size:           4
        .value_kind:     hidden_block_count_x
      - .offset:         188
        .size:           4
        .value_kind:     hidden_block_count_y
      - .offset:         192
        .size:           4
        .value_kind:     hidden_block_count_z
      - .offset:         196
        .size:           2
        .value_kind:     hidden_group_size_x
      - .offset:         198
        .size:           2
        .value_kind:     hidden_group_size_y
      - .offset:         200
        .size:           2
        .value_kind:     hidden_group_size_z
      - .offset:         202
        .size:           2
        .value_kind:     hidden_remainder_x
      - .offset:         204
        .size:           2
        .value_kind:     hidden_remainder_y
      - .offset:         206
        .size:           2
        .value_kind:     hidden_remainder_z
      - .offset:         224
        .size:           8
        .value_kind:     hidden_global_offset_x
      - .offset:         232
        .size:           8
        .value_kind:     hidden_global_offset_y
      - .offset:         240
        .size:           8
        .value_kind:     hidden_global_offset_z
      - .offset:         248
        .size:           2
        .value_kind:     hidden_grid_dims
    .group_segment_fixed_size: 0
    .kernarg_segment_align: 8
    .kernarg_segment_size: 440
    .language:       OpenCL C
    .language_version:
      - 2
      - 0
    .max_flat_workgroup_size: 1024
    .name:           _ZN9rocsolver6v33100L16mfma_gemm_kernelI19rocblas_complex_numIdElS3_PS3_S4_S4_EEv18rocblas_operation_S5_T0_S6_S6_T1_T2_lS6_S6_lT3_lS6_S6_lS7_T4_lS6_S6_l
    .private_segment_fixed_size: 0
    .sgpr_count:     70
    .sgpr_spill_count: 0
    .symbol:         _ZN9rocsolver6v33100L16mfma_gemm_kernelI19rocblas_complex_numIdElS3_PS3_S4_S4_EEv18rocblas_operation_S5_T0_S6_S6_T1_T2_lS6_S6_lT3_lS6_S6_lS7_T4_lS6_S6_l.kd
    .uniform_work_group_size: 1
    .uses_dynamic_stack: false
    .vgpr_count:     70
    .vgpr_spill_count: 0
    .wavefront_size: 64
  - .agpr_count:     0
    .args:
      - .offset:         0
        .size:           8
        .value_kind:     by_value
      - .offset:         8
        .size:           8
        .value_kind:     by_value
      - .offset:         16
        .size:           8
        .value_kind:     by_value
      - .address_space:  global
        .offset:         24
        .size:           8
        .value_kind:     global_buffer
      - .offset:         32
        .size:           1
        .value_kind:     by_value
      - .address_space:  global
        .offset:         40
        .size:           8
        .value_kind:     global_buffer
      - .offset:         48
        .size:           8
        .value_kind:     by_value
      - .offset:         56
        .size:           8
        .value_kind:     by_value
      - .offset:         64
        .size:           8
        .value_kind:     by_value
      - .offset:         72
        .size:           8
        .value_kind:     by_value
      - .offset:         80
        .size:           1
        .value_kind:     by_value
      - .address_space:  global
        .offset:         88
        .size:           8
        .value_kind:     global_buffer
      - .offset:         96
        .size:           8
        .value_kind:     by_value
      - .offset:         104
        .size:           8
        .value_kind:     by_value
      - .offset:         112
        .size:           8
        .value_kind:     by_value
      - .offset:         120
        .size:           8
        .value_kind:     by_value
      - .address_space:  global
        .offset:         128
        .size:           8
        .value_kind:     global_buffer
      - .address_space:  global
        .offset:         136
        .size:           8
        .value_kind:     global_buffer
      - .offset:         144
        .size:           8
        .value_kind:     by_value
      - .offset:         152
        .size:           8
        .value_kind:     by_value
      - .offset:         160
        .size:           8
        .value_kind:     by_value
      - .offset:         168
        .size:           8
        .value_kind:     by_value
      - .offset:         176
        .size:           4
        .value_kind:     hidden_block_count_x
      - .offset:         180
        .size:           4
        .value_kind:     hidden_block_count_y
      - .offset:         184
        .size:           4
        .value_kind:     hidden_block_count_z
      - .offset:         188
        .size:           2
        .value_kind:     hidden_group_size_x
      - .offset:         190
        .size:           2
        .value_kind:     hidden_group_size_y
      - .offset:         192
        .size:           2
        .value_kind:     hidden_group_size_z
      - .offset:         194
        .size:           2
        .value_kind:     hidden_remainder_x
      - .offset:         196
        .size:           2
        .value_kind:     hidden_remainder_y
      - .offset:         198
        .size:           2
        .value_kind:     hidden_remainder_z
      - .offset:         216
        .size:           8
        .value_kind:     hidden_global_offset_x
      - .offset:         224
        .size:           8
        .value_kind:     hidden_global_offset_y
      - .offset:         232
        .size:           8
        .value_kind:     hidden_global_offset_z
      - .offset:         240
        .size:           2
        .value_kind:     hidden_grid_dims
    .group_segment_fixed_size: 0
    .kernarg_segment_align: 8
    .kernarg_segment_size: 432
    .language:       OpenCL C
    .language_version:
      - 2
      - 0
    .max_flat_workgroup_size: 1024
    .name:           _ZN9rocsolver6v33100L11gemm_kernelI19rocblas_complex_numIdElPKS3_PS3_S6_S6_EEvT0_S7_S7_T1_bT2_lS7_S7_lbT3_lS7_S7_lS8_T4_lS7_S7_l
    .private_segment_fixed_size: 0
    .sgpr_count:     48
    .sgpr_spill_count: 0
    .symbol:         _ZN9rocsolver6v33100L11gemm_kernelI19rocblas_complex_numIdElPKS3_PS3_S6_S6_EEvT0_S7_S7_T1_bT2_lS7_S7_lbT3_lS7_S7_lS8_T4_lS7_S7_l.kd
    .uniform_work_group_size: 1
    .uses_dynamic_stack: false
    .vgpr_count:     24
    .vgpr_spill_count: 0
    .wavefront_size: 64
  - .agpr_count:     0
    .args:
      - .offset:         0
        .size:           8
        .value_kind:     by_value
      - .offset:         8
        .size:           8
        .value_kind:     by_value
      - .offset:         16
        .size:           8
        .value_kind:     by_value
      - .offset:         24
        .size:           16
        .value_kind:     by_value
      - .offset:         40
        .size:           1
        .value_kind:     by_value
      - .address_space:  global
        .offset:         48
        .size:           8
        .value_kind:     global_buffer
      - .offset:         56
        .size:           8
        .value_kind:     by_value
      - .offset:         64
        .size:           8
        .value_kind:     by_value
      - .offset:         72
        .size:           8
        .value_kind:     by_value
      - .offset:         80
        .size:           8
        .value_kind:     by_value
      - .offset:         88
        .size:           1
        .value_kind:     by_value
      - .address_space:  global
        .offset:         96
        .size:           8
        .value_kind:     global_buffer
      - .offset:         104
        .size:           8
        .value_kind:     by_value
      - .offset:         112
        .size:           8
        .value_kind:     by_value
      - .offset:         120
        .size:           8
        .value_kind:     by_value
      - .offset:         128
        .size:           8
        .value_kind:     by_value
      - .offset:         136
        .size:           16
        .value_kind:     by_value
      - .address_space:  global
        .offset:         152
        .size:           8
        .value_kind:     global_buffer
      - .offset:         160
        .size:           8
        .value_kind:     by_value
      - .offset:         168
        .size:           8
        .value_kind:     by_value
      - .offset:         176
        .size:           8
        .value_kind:     by_value
      - .offset:         184
        .size:           8
        .value_kind:     by_value
      - .offset:         192
        .size:           4
        .value_kind:     hidden_block_count_x
      - .offset:         196
        .size:           4
        .value_kind:     hidden_block_count_y
      - .offset:         200
        .size:           4
        .value_kind:     hidden_block_count_z
      - .offset:         204
        .size:           2
        .value_kind:     hidden_group_size_x
      - .offset:         206
        .size:           2
        .value_kind:     hidden_group_size_y
      - .offset:         208
        .size:           2
        .value_kind:     hidden_group_size_z
      - .offset:         210
        .size:           2
        .value_kind:     hidden_remainder_x
      - .offset:         212
        .size:           2
        .value_kind:     hidden_remainder_y
      - .offset:         214
        .size:           2
        .value_kind:     hidden_remainder_z
      - .offset:         232
        .size:           8
        .value_kind:     hidden_global_offset_x
      - .offset:         240
        .size:           8
        .value_kind:     hidden_global_offset_y
      - .offset:         248
        .size:           8
        .value_kind:     hidden_global_offset_z
      - .offset:         256
        .size:           2
        .value_kind:     hidden_grid_dims
    .group_segment_fixed_size: 0
    .kernarg_segment_align: 8
    .kernarg_segment_size: 448
    .language:       OpenCL C
    .language_version:
      - 2
      - 0
    .max_flat_workgroup_size: 1024
    .name:           _ZN9rocsolver6v33100L11gemm_kernelI19rocblas_complex_numIdElS3_PS3_S4_S4_EEvT0_S5_S5_T1_bT2_lS5_S5_lbT3_lS5_S5_lS6_T4_lS5_S5_l
    .private_segment_fixed_size: 0
    .sgpr_count:     48
    .sgpr_spill_count: 0
    .symbol:         _ZN9rocsolver6v33100L11gemm_kernelI19rocblas_complex_numIdElS3_PS3_S4_S4_EEvT0_S5_S5_T1_bT2_lS5_S5_lbT3_lS5_S5_lS6_T4_lS5_S5_l.kd
    .uniform_work_group_size: 1
    .uses_dynamic_stack: false
    .vgpr_count:     24
    .vgpr_spill_count: 0
    .wavefront_size: 64
  - .agpr_count:     0
    .args:
      - .offset:         0
        .size:           4
        .value_kind:     by_value
      - .offset:         4
        .size:           4
        .value_kind:     by_value
      - .offset:         8
        .size:           8
        .value_kind:     by_value
      - .offset:         16
        .size:           8
        .value_kind:     by_value
      - .offset:         24
        .size:           8
        .value_kind:     by_value
      - .address_space:  global
        .offset:         32
        .size:           8
        .value_kind:     global_buffer
      - .address_space:  global
        .offset:         40
        .size:           8
        .value_kind:     global_buffer
      - .offset:         48
        .size:           8
        .value_kind:     by_value
      - .offset:         56
        .size:           8
        .value_kind:     by_value
      - .offset:         64
        .size:           8
        .value_kind:     by_value
      - .offset:         72
        .size:           8
        .value_kind:     by_value
      - .address_space:  global
        .offset:         80
        .size:           8
        .value_kind:     global_buffer
      - .offset:         88
        .size:           8
        .value_kind:     by_value
      - .offset:         96
        .size:           8
        .value_kind:     by_value
      - .offset:         104
        .size:           8
        .value_kind:     by_value
      - .offset:         112
        .size:           8
        .value_kind:     by_value
      - .address_space:  global
        .offset:         120
        .size:           8
        .value_kind:     global_buffer
      - .address_space:  global
        .offset:         128
        .size:           8
        .value_kind:     global_buffer
      - .offset:         136
        .size:           8
        .value_kind:     by_value
      - .offset:         144
        .size:           8
        .value_kind:     by_value
      - .offset:         152
        .size:           8
        .value_kind:     by_value
      - .offset:         160
        .size:           8
        .value_kind:     by_value
      - .offset:         168
        .size:           4
        .value_kind:     hidden_block_count_x
      - .offset:         172
        .size:           4
        .value_kind:     hidden_block_count_y
      - .offset:         176
        .size:           4
        .value_kind:     hidden_block_count_z
      - .offset:         180
        .size:           2
        .value_kind:     hidden_group_size_x
      - .offset:         182
        .size:           2
        .value_kind:     hidden_group_size_y
      - .offset:         184
        .size:           2
        .value_kind:     hidden_group_size_z
      - .offset:         186
        .size:           2
        .value_kind:     hidden_remainder_x
      - .offset:         188
        .size:           2
        .value_kind:     hidden_remainder_y
      - .offset:         190
        .size:           2
        .value_kind:     hidden_remainder_z
      - .offset:         208
        .size:           8
        .value_kind:     hidden_global_offset_x
      - .offset:         216
        .size:           8
        .value_kind:     hidden_global_offset_y
      - .offset:         224
        .size:           8
        .value_kind:     hidden_global_offset_z
      - .offset:         232
        .size:           2
        .value_kind:     hidden_grid_dims
    .group_segment_fixed_size: 0
    .kernarg_segment_align: 8
    .kernarg_segment_size: 424
    .language:       OpenCL C
    .language_version:
      - 2
      - 0
    .max_flat_workgroup_size: 1024
    .name:           _ZN9rocsolver6v33100L16mfma_gemm_kernelI19rocblas_complex_numIdElPKS3_PKPS3_S8_S8_EEv18rocblas_operation_S9_T0_SA_SA_T1_T2_lSA_SA_lT3_lSA_SA_lSB_T4_lSA_SA_l
    .private_segment_fixed_size: 0
    .sgpr_count:     61
    .sgpr_spill_count: 0
    .symbol:         _ZN9rocsolver6v33100L16mfma_gemm_kernelI19rocblas_complex_numIdElPKS3_PKPS3_S8_S8_EEv18rocblas_operation_S9_T0_SA_SA_T1_T2_lSA_SA_lT3_lSA_SA_lSB_T4_lSA_SA_l.kd
    .uniform_work_group_size: 1
    .uses_dynamic_stack: false
    .vgpr_count:     70
    .vgpr_spill_count: 0
    .wavefront_size: 64
  - .agpr_count:     0
    .args:
      - .offset:         0
        .size:           4
        .value_kind:     by_value
      - .offset:         4
        .size:           4
        .value_kind:     by_value
      - .offset:         8
        .size:           8
        .value_kind:     by_value
      - .offset:         16
        .size:           8
        .value_kind:     by_value
      - .offset:         24
        .size:           8
        .value_kind:     by_value
      - .offset:         32
        .size:           16
        .value_kind:     by_value
      - .address_space:  global
        .offset:         48
        .size:           8
        .value_kind:     global_buffer
      - .offset:         56
        .size:           8
        .value_kind:     by_value
      - .offset:         64
        .size:           8
        .value_kind:     by_value
      - .offset:         72
        .size:           8
        .value_kind:     by_value
      - .offset:         80
        .size:           8
        .value_kind:     by_value
      - .address_space:  global
        .offset:         88
        .size:           8
        .value_kind:     global_buffer
      - .offset:         96
        .size:           8
        .value_kind:     by_value
      - .offset:         104
        .size:           8
        .value_kind:     by_value
      - .offset:         112
        .size:           8
        .value_kind:     by_value
      - .offset:         120
        .size:           8
        .value_kind:     by_value
      - .offset:         128
        .size:           16
        .value_kind:     by_value
      - .address_space:  global
        .offset:         144
        .size:           8
        .value_kind:     global_buffer
      - .offset:         152
        .size:           8
        .value_kind:     by_value
      - .offset:         160
        .size:           8
        .value_kind:     by_value
      - .offset:         168
        .size:           8
        .value_kind:     by_value
      - .offset:         176
        .size:           8
        .value_kind:     by_value
      - .offset:         184
        .size:           4
        .value_kind:     hidden_block_count_x
      - .offset:         188
        .size:           4
        .value_kind:     hidden_block_count_y
      - .offset:         192
        .size:           4
        .value_kind:     hidden_block_count_z
      - .offset:         196
        .size:           2
        .value_kind:     hidden_group_size_x
      - .offset:         198
        .size:           2
        .value_kind:     hidden_group_size_y
      - .offset:         200
        .size:           2
        .value_kind:     hidden_group_size_z
      - .offset:         202
        .size:           2
        .value_kind:     hidden_remainder_x
      - .offset:         204
        .size:           2
        .value_kind:     hidden_remainder_y
      - .offset:         206
        .size:           2
        .value_kind:     hidden_remainder_z
      - .offset:         224
        .size:           8
        .value_kind:     hidden_global_offset_x
      - .offset:         232
        .size:           8
        .value_kind:     hidden_global_offset_y
      - .offset:         240
        .size:           8
        .value_kind:     hidden_global_offset_z
      - .offset:         248
        .size:           2
        .value_kind:     hidden_grid_dims
    .group_segment_fixed_size: 0
    .kernarg_segment_align: 8
    .kernarg_segment_size: 440
    .language:       OpenCL C
    .language_version:
      - 2
      - 0
    .max_flat_workgroup_size: 1024
    .name:           _ZN9rocsolver6v33100L16mfma_gemm_kernelI19rocblas_complex_numIdElS3_PKPS3_S6_S6_EEv18rocblas_operation_S7_T0_S8_S8_T1_T2_lS8_S8_lT3_lS8_S8_lS9_T4_lS8_S8_l
    .private_segment_fixed_size: 0
    .sgpr_count:     61
    .sgpr_spill_count: 0
    .symbol:         _ZN9rocsolver6v33100L16mfma_gemm_kernelI19rocblas_complex_numIdElS3_PKPS3_S6_S6_EEv18rocblas_operation_S7_T0_S8_S8_T1_T2_lS8_S8_lT3_lS8_S8_lS9_T4_lS8_S8_l.kd
    .uniform_work_group_size: 1
    .uses_dynamic_stack: false
    .vgpr_count:     70
    .vgpr_spill_count: 0
    .wavefront_size: 64
  - .agpr_count:     0
    .args:
      - .offset:         0
        .size:           8
        .value_kind:     by_value
      - .offset:         8
        .size:           8
        .value_kind:     by_value
      - .offset:         16
        .size:           8
        .value_kind:     by_value
      - .address_space:  global
        .offset:         24
        .size:           8
        .value_kind:     global_buffer
      - .offset:         32
        .size:           1
        .value_kind:     by_value
      - .address_space:  global
        .offset:         40
        .size:           8
        .value_kind:     global_buffer
      - .offset:         48
        .size:           8
        .value_kind:     by_value
      - .offset:         56
        .size:           8
        .value_kind:     by_value
      - .offset:         64
        .size:           8
        .value_kind:     by_value
      - .offset:         72
        .size:           8
        .value_kind:     by_value
      - .offset:         80
        .size:           1
        .value_kind:     by_value
      - .address_space:  global
        .offset:         88
        .size:           8
        .value_kind:     global_buffer
      - .offset:         96
        .size:           8
        .value_kind:     by_value
      - .offset:         104
        .size:           8
        .value_kind:     by_value
      - .offset:         112
        .size:           8
        .value_kind:     by_value
      - .offset:         120
        .size:           8
        .value_kind:     by_value
      - .address_space:  global
        .offset:         128
        .size:           8
        .value_kind:     global_buffer
      - .address_space:  global
        .offset:         136
        .size:           8
        .value_kind:     global_buffer
      - .offset:         144
        .size:           8
        .value_kind:     by_value
      - .offset:         152
        .size:           8
        .value_kind:     by_value
      - .offset:         160
        .size:           8
        .value_kind:     by_value
      - .offset:         168
        .size:           8
        .value_kind:     by_value
      - .offset:         176
        .size:           4
        .value_kind:     hidden_block_count_x
      - .offset:         180
        .size:           4
        .value_kind:     hidden_block_count_y
      - .offset:         184
        .size:           4
        .value_kind:     hidden_block_count_z
      - .offset:         188
        .size:           2
        .value_kind:     hidden_group_size_x
      - .offset:         190
        .size:           2
        .value_kind:     hidden_group_size_y
      - .offset:         192
        .size:           2
        .value_kind:     hidden_group_size_z
      - .offset:         194
        .size:           2
        .value_kind:     hidden_remainder_x
      - .offset:         196
        .size:           2
        .value_kind:     hidden_remainder_y
      - .offset:         198
        .size:           2
        .value_kind:     hidden_remainder_z
      - .offset:         216
        .size:           8
        .value_kind:     hidden_global_offset_x
      - .offset:         224
        .size:           8
        .value_kind:     hidden_global_offset_y
      - .offset:         232
        .size:           8
        .value_kind:     hidden_global_offset_z
      - .offset:         240
        .size:           2
        .value_kind:     hidden_grid_dims
    .group_segment_fixed_size: 0
    .kernarg_segment_align: 8
    .kernarg_segment_size: 432
    .language:       OpenCL C
    .language_version:
      - 2
      - 0
    .max_flat_workgroup_size: 1024
    .name:           _ZN9rocsolver6v33100L11gemm_kernelI19rocblas_complex_numIdElPKS3_PKPS3_S8_S8_EEvT0_S9_S9_T1_bT2_lS9_S9_lbT3_lS9_S9_lSA_T4_lS9_S9_l
    .private_segment_fixed_size: 0
    .sgpr_count:     48
    .sgpr_spill_count: 0
    .symbol:         _ZN9rocsolver6v33100L11gemm_kernelI19rocblas_complex_numIdElPKS3_PKPS3_S8_S8_EEvT0_S9_S9_T1_bT2_lS9_S9_lbT3_lS9_S9_lSA_T4_lS9_S9_l.kd
    .uniform_work_group_size: 1
    .uses_dynamic_stack: false
    .vgpr_count:     24
    .vgpr_spill_count: 0
    .wavefront_size: 64
  - .agpr_count:     0
    .args:
      - .offset:         0
        .size:           8
        .value_kind:     by_value
      - .offset:         8
        .size:           8
        .value_kind:     by_value
      - .offset:         16
        .size:           8
        .value_kind:     by_value
      - .offset:         24
        .size:           16
        .value_kind:     by_value
      - .offset:         40
        .size:           1
        .value_kind:     by_value
      - .address_space:  global
        .offset:         48
        .size:           8
        .value_kind:     global_buffer
      - .offset:         56
        .size:           8
        .value_kind:     by_value
      - .offset:         64
        .size:           8
        .value_kind:     by_value
      - .offset:         72
        .size:           8
        .value_kind:     by_value
      - .offset:         80
        .size:           8
        .value_kind:     by_value
      - .offset:         88
        .size:           1
        .value_kind:     by_value
      - .address_space:  global
        .offset:         96
        .size:           8
        .value_kind:     global_buffer
      - .offset:         104
        .size:           8
        .value_kind:     by_value
      - .offset:         112
        .size:           8
        .value_kind:     by_value
      - .offset:         120
        .size:           8
        .value_kind:     by_value
      - .offset:         128
        .size:           8
        .value_kind:     by_value
      - .offset:         136
        .size:           16
        .value_kind:     by_value
      - .address_space:  global
        .offset:         152
        .size:           8
        .value_kind:     global_buffer
      - .offset:         160
        .size:           8
        .value_kind:     by_value
      - .offset:         168
        .size:           8
        .value_kind:     by_value
      - .offset:         176
        .size:           8
        .value_kind:     by_value
      - .offset:         184
        .size:           8
        .value_kind:     by_value
      - .offset:         192
        .size:           4
        .value_kind:     hidden_block_count_x
      - .offset:         196
        .size:           4
        .value_kind:     hidden_block_count_y
      - .offset:         200
        .size:           4
        .value_kind:     hidden_block_count_z
      - .offset:         204
        .size:           2
        .value_kind:     hidden_group_size_x
      - .offset:         206
        .size:           2
        .value_kind:     hidden_group_size_y
      - .offset:         208
        .size:           2
        .value_kind:     hidden_group_size_z
      - .offset:         210
        .size:           2
        .value_kind:     hidden_remainder_x
      - .offset:         212
        .size:           2
        .value_kind:     hidden_remainder_y
      - .offset:         214
        .size:           2
        .value_kind:     hidden_remainder_z
      - .offset:         232
        .size:           8
        .value_kind:     hidden_global_offset_x
      - .offset:         240
        .size:           8
        .value_kind:     hidden_global_offset_y
      - .offset:         248
        .size:           8
        .value_kind:     hidden_global_offset_z
      - .offset:         256
        .size:           2
        .value_kind:     hidden_grid_dims
    .group_segment_fixed_size: 0
    .kernarg_segment_align: 8
    .kernarg_segment_size: 448
    .language:       OpenCL C
    .language_version:
      - 2
      - 0
    .max_flat_workgroup_size: 1024
    .name:           _ZN9rocsolver6v33100L11gemm_kernelI19rocblas_complex_numIdElS3_PKPS3_S6_S6_EEvT0_S7_S7_T1_bT2_lS7_S7_lbT3_lS7_S7_lS8_T4_lS7_S7_l
    .private_segment_fixed_size: 0
    .sgpr_count:     48
    .sgpr_spill_count: 0
    .symbol:         _ZN9rocsolver6v33100L11gemm_kernelI19rocblas_complex_numIdElS3_PKPS3_S6_S6_EEvT0_S7_S7_T1_bT2_lS7_S7_lbT3_lS7_S7_lS8_T4_lS7_S7_l.kd
    .uniform_work_group_size: 1
    .uses_dynamic_stack: false
    .vgpr_count:     24
    .vgpr_spill_count: 0
    .wavefront_size: 64
  - .agpr_count:     0
    .args:
      - .address_space:  global
        .offset:         0
        .size:           8
        .value_kind:     global_buffer
      - .address_space:  global
        .offset:         8
        .size:           8
        .value_kind:     global_buffer
      - .offset:         16
        .size:           8
        .value_kind:     by_value
      - .offset:         24
        .size:           8
        .value_kind:     by_value
      - .offset:         32
        .size:           4
        .value_kind:     hidden_block_count_x
      - .offset:         36
        .size:           4
        .value_kind:     hidden_block_count_y
      - .offset:         40
        .size:           4
        .value_kind:     hidden_block_count_z
      - .offset:         44
        .size:           2
        .value_kind:     hidden_group_size_x
      - .offset:         46
        .size:           2
        .value_kind:     hidden_group_size_y
      - .offset:         48
        .size:           2
        .value_kind:     hidden_group_size_z
      - .offset:         50
        .size:           2
        .value_kind:     hidden_remainder_x
      - .offset:         52
        .size:           2
        .value_kind:     hidden_remainder_y
      - .offset:         54
        .size:           2
        .value_kind:     hidden_remainder_z
      - .offset:         72
        .size:           8
        .value_kind:     hidden_global_offset_x
      - .offset:         80
        .size:           8
        .value_kind:     hidden_global_offset_y
      - .offset:         88
        .size:           8
        .value_kind:     hidden_global_offset_z
      - .offset:         96
        .size:           2
        .value_kind:     hidden_grid_dims
    .group_segment_fixed_size: 0
    .kernarg_segment_align: 8
    .kernarg_segment_size: 288
    .language:       OpenCL C
    .language_version:
      - 2
      - 0
    .max_flat_workgroup_size: 1024
    .name:           _ZN9rocsolver6v33100L9get_arrayI19rocblas_complex_numIdElEEvPPT_S5_lT0_
    .private_segment_fixed_size: 0
    .sgpr_count:     20
    .sgpr_spill_count: 0
    .symbol:         _ZN9rocsolver6v33100L9get_arrayI19rocblas_complex_numIdElEEvPPT_S5_lT0_.kd
    .uniform_work_group_size: 1
    .uses_dynamic_stack: false
    .vgpr_count:     6
    .vgpr_spill_count: 0
    .wavefront_size: 64
  - .agpr_count:     0
    .args:
      - .offset:         0
        .size:           4
        .value_kind:     by_value
      - .offset:         4
        .size:           4
        .value_kind:     by_value
      - .offset:         8
        .size:           8
        .value_kind:     by_value
      - .offset:         16
        .size:           8
        .value_kind:     by_value
      - .offset:         24
        .size:           8
        .value_kind:     by_value
      - .address_space:  global
        .offset:         32
        .size:           8
        .value_kind:     global_buffer
      - .address_space:  global
        .offset:         40
        .size:           8
        .value_kind:     global_buffer
      - .offset:         48
        .size:           8
        .value_kind:     by_value
      - .offset:         56
        .size:           8
        .value_kind:     by_value
      - .offset:         64
        .size:           8
        .value_kind:     by_value
      - .offset:         72
        .size:           8
        .value_kind:     by_value
      - .address_space:  global
        .offset:         80
        .size:           8
        .value_kind:     global_buffer
      - .offset:         88
        .size:           8
        .value_kind:     by_value
      - .offset:         96
        .size:           8
        .value_kind:     by_value
      - .offset:         104
        .size:           8
        .value_kind:     by_value
      - .offset:         112
        .size:           8
        .value_kind:     by_value
      - .address_space:  global
        .offset:         120
        .size:           8
        .value_kind:     global_buffer
      - .address_space:  global
        .offset:         128
        .size:           8
        .value_kind:     global_buffer
      - .offset:         136
        .size:           8
        .value_kind:     by_value
      - .offset:         144
        .size:           8
        .value_kind:     by_value
      - .offset:         152
        .size:           8
        .value_kind:     by_value
      - .offset:         160
        .size:           8
        .value_kind:     by_value
      - .offset:         168
        .size:           4
        .value_kind:     hidden_block_count_x
      - .offset:         172
        .size:           4
        .value_kind:     hidden_block_count_y
      - .offset:         176
        .size:           4
        .value_kind:     hidden_block_count_z
      - .offset:         180
        .size:           2
        .value_kind:     hidden_group_size_x
      - .offset:         182
        .size:           2
        .value_kind:     hidden_group_size_y
      - .offset:         184
        .size:           2
        .value_kind:     hidden_group_size_z
      - .offset:         186
        .size:           2
        .value_kind:     hidden_remainder_x
      - .offset:         188
        .size:           2
        .value_kind:     hidden_remainder_y
      - .offset:         190
        .size:           2
        .value_kind:     hidden_remainder_z
      - .offset:         208
        .size:           8
        .value_kind:     hidden_global_offset_x
      - .offset:         216
        .size:           8
        .value_kind:     hidden_global_offset_y
      - .offset:         224
        .size:           8
        .value_kind:     hidden_global_offset_z
      - .offset:         232
        .size:           2
        .value_kind:     hidden_grid_dims
    .group_segment_fixed_size: 0
    .kernarg_segment_align: 8
    .kernarg_segment_size: 424
    .language:       OpenCL C
    .language_version:
      - 2
      - 0
    .max_flat_workgroup_size: 1024
    .name:           _ZN9rocsolver6v33100L16mfma_gemm_kernelI19rocblas_complex_numIdElPKS3_PS3_PKS6_S8_EEv18rocblas_operation_S9_T0_SA_SA_T1_T2_lSA_SA_lT3_lSA_SA_lSB_T4_lSA_SA_l
    .private_segment_fixed_size: 0
    .sgpr_count:     65
    .sgpr_spill_count: 0
    .symbol:         _ZN9rocsolver6v33100L16mfma_gemm_kernelI19rocblas_complex_numIdElPKS3_PS3_PKS6_S8_EEv18rocblas_operation_S9_T0_SA_SA_T1_T2_lSA_SA_lT3_lSA_SA_lSB_T4_lSA_SA_l.kd
    .uniform_work_group_size: 1
    .uses_dynamic_stack: false
    .vgpr_count:     70
    .vgpr_spill_count: 0
    .wavefront_size: 64
  - .agpr_count:     0
    .args:
      - .offset:         0
        .size:           4
        .value_kind:     by_value
      - .offset:         4
        .size:           4
        .value_kind:     by_value
      - .offset:         8
        .size:           8
        .value_kind:     by_value
      - .offset:         16
        .size:           8
        .value_kind:     by_value
      - .offset:         24
        .size:           8
        .value_kind:     by_value
      - .offset:         32
        .size:           16
        .value_kind:     by_value
      - .address_space:  global
        .offset:         48
        .size:           8
        .value_kind:     global_buffer
      - .offset:         56
        .size:           8
        .value_kind:     by_value
      - .offset:         64
        .size:           8
        .value_kind:     by_value
      - .offset:         72
        .size:           8
        .value_kind:     by_value
      - .offset:         80
        .size:           8
        .value_kind:     by_value
      - .address_space:  global
        .offset:         88
        .size:           8
        .value_kind:     global_buffer
      - .offset:         96
        .size:           8
        .value_kind:     by_value
      - .offset:         104
        .size:           8
        .value_kind:     by_value
      - .offset:         112
        .size:           8
        .value_kind:     by_value
      - .offset:         120
        .size:           8
        .value_kind:     by_value
      - .offset:         128
        .size:           16
        .value_kind:     by_value
      - .address_space:  global
        .offset:         144
        .size:           8
        .value_kind:     global_buffer
      - .offset:         152
        .size:           8
        .value_kind:     by_value
      - .offset:         160
        .size:           8
        .value_kind:     by_value
      - .offset:         168
        .size:           8
        .value_kind:     by_value
      - .offset:         176
        .size:           8
        .value_kind:     by_value
      - .offset:         184
        .size:           4
        .value_kind:     hidden_block_count_x
      - .offset:         188
        .size:           4
        .value_kind:     hidden_block_count_y
      - .offset:         192
        .size:           4
        .value_kind:     hidden_block_count_z
      - .offset:         196
        .size:           2
        .value_kind:     hidden_group_size_x
      - .offset:         198
        .size:           2
        .value_kind:     hidden_group_size_y
      - .offset:         200
        .size:           2
        .value_kind:     hidden_group_size_z
      - .offset:         202
        .size:           2
        .value_kind:     hidden_remainder_x
      - .offset:         204
        .size:           2
        .value_kind:     hidden_remainder_y
      - .offset:         206
        .size:           2
        .value_kind:     hidden_remainder_z
      - .offset:         224
        .size:           8
        .value_kind:     hidden_global_offset_x
      - .offset:         232
        .size:           8
        .value_kind:     hidden_global_offset_y
      - .offset:         240
        .size:           8
        .value_kind:     hidden_global_offset_z
      - .offset:         248
        .size:           2
        .value_kind:     hidden_grid_dims
    .group_segment_fixed_size: 0
    .kernarg_segment_align: 8
    .kernarg_segment_size: 440
    .language:       OpenCL C
    .language_version:
      - 2
      - 0
    .max_flat_workgroup_size: 1024
    .name:           _ZN9rocsolver6v33100L16mfma_gemm_kernelI19rocblas_complex_numIdElS3_PS3_PKS4_S6_EEv18rocblas_operation_S7_T0_S8_S8_T1_T2_lS8_S8_lT3_lS8_S8_lS9_T4_lS8_S8_l
    .private_segment_fixed_size: 0
    .sgpr_count:     65
    .sgpr_spill_count: 0
    .symbol:         _ZN9rocsolver6v33100L16mfma_gemm_kernelI19rocblas_complex_numIdElS3_PS3_PKS4_S6_EEv18rocblas_operation_S7_T0_S8_S8_T1_T2_lS8_S8_lT3_lS8_S8_lS9_T4_lS8_S8_l.kd
    .uniform_work_group_size: 1
    .uses_dynamic_stack: false
    .vgpr_count:     70
    .vgpr_spill_count: 0
    .wavefront_size: 64
  - .agpr_count:     0
    .args:
      - .offset:         0
        .size:           8
        .value_kind:     by_value
      - .offset:         8
        .size:           8
        .value_kind:     by_value
      - .offset:         16
        .size:           8
        .value_kind:     by_value
      - .address_space:  global
        .offset:         24
        .size:           8
        .value_kind:     global_buffer
      - .offset:         32
        .size:           1
        .value_kind:     by_value
      - .address_space:  global
        .offset:         40
        .size:           8
        .value_kind:     global_buffer
      - .offset:         48
        .size:           8
        .value_kind:     by_value
      - .offset:         56
        .size:           8
        .value_kind:     by_value
      - .offset:         64
        .size:           8
        .value_kind:     by_value
      - .offset:         72
        .size:           8
        .value_kind:     by_value
      - .offset:         80
        .size:           1
        .value_kind:     by_value
      - .address_space:  global
        .offset:         88
        .size:           8
        .value_kind:     global_buffer
      - .offset:         96
        .size:           8
        .value_kind:     by_value
      - .offset:         104
        .size:           8
        .value_kind:     by_value
      - .offset:         112
        .size:           8
        .value_kind:     by_value
      - .offset:         120
        .size:           8
        .value_kind:     by_value
      - .address_space:  global
        .offset:         128
        .size:           8
        .value_kind:     global_buffer
      - .address_space:  global
        .offset:         136
        .size:           8
        .value_kind:     global_buffer
      - .offset:         144
        .size:           8
        .value_kind:     by_value
      - .offset:         152
        .size:           8
        .value_kind:     by_value
      - .offset:         160
        .size:           8
        .value_kind:     by_value
      - .offset:         168
        .size:           8
        .value_kind:     by_value
      - .offset:         176
        .size:           4
        .value_kind:     hidden_block_count_x
      - .offset:         180
        .size:           4
        .value_kind:     hidden_block_count_y
      - .offset:         184
        .size:           4
        .value_kind:     hidden_block_count_z
      - .offset:         188
        .size:           2
        .value_kind:     hidden_group_size_x
      - .offset:         190
        .size:           2
        .value_kind:     hidden_group_size_y
      - .offset:         192
        .size:           2
        .value_kind:     hidden_group_size_z
      - .offset:         194
        .size:           2
        .value_kind:     hidden_remainder_x
      - .offset:         196
        .size:           2
        .value_kind:     hidden_remainder_y
      - .offset:         198
        .size:           2
        .value_kind:     hidden_remainder_z
      - .offset:         216
        .size:           8
        .value_kind:     hidden_global_offset_x
      - .offset:         224
        .size:           8
        .value_kind:     hidden_global_offset_y
      - .offset:         232
        .size:           8
        .value_kind:     hidden_global_offset_z
      - .offset:         240
        .size:           2
        .value_kind:     hidden_grid_dims
    .group_segment_fixed_size: 0
    .kernarg_segment_align: 8
    .kernarg_segment_size: 432
    .language:       OpenCL C
    .language_version:
      - 2
      - 0
    .max_flat_workgroup_size: 1024
    .name:           _ZN9rocsolver6v33100L11gemm_kernelI19rocblas_complex_numIdElPKS3_PS3_PKS6_S8_EEvT0_S9_S9_T1_bT2_lS9_S9_lbT3_lS9_S9_lSA_T4_lS9_S9_l
    .private_segment_fixed_size: 0
    .sgpr_count:     48
    .sgpr_spill_count: 0
    .symbol:         _ZN9rocsolver6v33100L11gemm_kernelI19rocblas_complex_numIdElPKS3_PS3_PKS6_S8_EEvT0_S9_S9_T1_bT2_lS9_S9_lbT3_lS9_S9_lSA_T4_lS9_S9_l.kd
    .uniform_work_group_size: 1
    .uses_dynamic_stack: false
    .vgpr_count:     24
    .vgpr_spill_count: 0
    .wavefront_size: 64
  - .agpr_count:     0
    .args:
      - .offset:         0
        .size:           8
        .value_kind:     by_value
      - .offset:         8
        .size:           8
        .value_kind:     by_value
      - .offset:         16
        .size:           8
        .value_kind:     by_value
      - .offset:         24
        .size:           16
        .value_kind:     by_value
      - .offset:         40
        .size:           1
        .value_kind:     by_value
      - .address_space:  global
        .offset:         48
        .size:           8
        .value_kind:     global_buffer
      - .offset:         56
        .size:           8
        .value_kind:     by_value
      - .offset:         64
        .size:           8
        .value_kind:     by_value
      - .offset:         72
        .size:           8
        .value_kind:     by_value
      - .offset:         80
        .size:           8
        .value_kind:     by_value
      - .offset:         88
        .size:           1
        .value_kind:     by_value
      - .address_space:  global
        .offset:         96
        .size:           8
        .value_kind:     global_buffer
      - .offset:         104
        .size:           8
        .value_kind:     by_value
      - .offset:         112
        .size:           8
        .value_kind:     by_value
      - .offset:         120
        .size:           8
        .value_kind:     by_value
      - .offset:         128
        .size:           8
        .value_kind:     by_value
      - .offset:         136
        .size:           16
        .value_kind:     by_value
      - .address_space:  global
        .offset:         152
        .size:           8
        .value_kind:     global_buffer
      - .offset:         160
        .size:           8
        .value_kind:     by_value
      - .offset:         168
        .size:           8
        .value_kind:     by_value
      - .offset:         176
        .size:           8
        .value_kind:     by_value
      - .offset:         184
        .size:           8
        .value_kind:     by_value
      - .offset:         192
        .size:           4
        .value_kind:     hidden_block_count_x
      - .offset:         196
        .size:           4
        .value_kind:     hidden_block_count_y
      - .offset:         200
        .size:           4
        .value_kind:     hidden_block_count_z
      - .offset:         204
        .size:           2
        .value_kind:     hidden_group_size_x
      - .offset:         206
        .size:           2
        .value_kind:     hidden_group_size_y
      - .offset:         208
        .size:           2
        .value_kind:     hidden_group_size_z
      - .offset:         210
        .size:           2
        .value_kind:     hidden_remainder_x
      - .offset:         212
        .size:           2
        .value_kind:     hidden_remainder_y
      - .offset:         214
        .size:           2
        .value_kind:     hidden_remainder_z
      - .offset:         232
        .size:           8
        .value_kind:     hidden_global_offset_x
      - .offset:         240
        .size:           8
        .value_kind:     hidden_global_offset_y
      - .offset:         248
        .size:           8
        .value_kind:     hidden_global_offset_z
      - .offset:         256
        .size:           2
        .value_kind:     hidden_grid_dims
    .group_segment_fixed_size: 0
    .kernarg_segment_align: 8
    .kernarg_segment_size: 448
    .language:       OpenCL C
    .language_version:
      - 2
      - 0
    .max_flat_workgroup_size: 1024
    .name:           _ZN9rocsolver6v33100L11gemm_kernelI19rocblas_complex_numIdElS3_PS3_PKS4_S6_EEvT0_S7_S7_T1_bT2_lS7_S7_lbT3_lS7_S7_lS8_T4_lS7_S7_l
    .private_segment_fixed_size: 0
    .sgpr_count:     56
    .sgpr_spill_count: 0
    .symbol:         _ZN9rocsolver6v33100L11gemm_kernelI19rocblas_complex_numIdElS3_PS3_PKS4_S6_EEvT0_S7_S7_T1_bT2_lS7_S7_lbT3_lS7_S7_lS8_T4_lS7_S7_l.kd
    .uniform_work_group_size: 1
    .uses_dynamic_stack: false
    .vgpr_count:     24
    .vgpr_spill_count: 0
    .wavefront_size: 64
  - .agpr_count:     0
    .args:
      - .offset:         0
        .size:           4
        .value_kind:     by_value
      - .offset:         4
        .size:           4
        .value_kind:     by_value
      - .offset:         8
        .size:           8
        .value_kind:     by_value
      - .offset:         16
        .size:           8
        .value_kind:     by_value
      - .offset:         24
        .size:           8
        .value_kind:     by_value
      - .address_space:  global
        .offset:         32
        .size:           8
        .value_kind:     global_buffer
      - .address_space:  global
        .offset:         40
        .size:           8
        .value_kind:     global_buffer
      - .offset:         48
        .size:           8
        .value_kind:     by_value
      - .offset:         56
        .size:           8
        .value_kind:     by_value
      - .offset:         64
        .size:           8
        .value_kind:     by_value
      - .offset:         72
        .size:           8
        .value_kind:     by_value
      - .address_space:  global
        .offset:         80
        .size:           8
        .value_kind:     global_buffer
      - .offset:         88
        .size:           8
        .value_kind:     by_value
      - .offset:         96
        .size:           8
        .value_kind:     by_value
      - .offset:         104
        .size:           8
        .value_kind:     by_value
      - .offset:         112
        .size:           8
        .value_kind:     by_value
      - .address_space:  global
        .offset:         120
        .size:           8
        .value_kind:     global_buffer
      - .address_space:  global
        .offset:         128
        .size:           8
        .value_kind:     global_buffer
      - .offset:         136
        .size:           8
        .value_kind:     by_value
      - .offset:         144
        .size:           8
        .value_kind:     by_value
      - .offset:         152
        .size:           8
        .value_kind:     by_value
      - .offset:         160
        .size:           8
        .value_kind:     by_value
      - .offset:         168
        .size:           4
        .value_kind:     hidden_block_count_x
      - .offset:         172
        .size:           4
        .value_kind:     hidden_block_count_y
      - .offset:         176
        .size:           4
        .value_kind:     hidden_block_count_z
      - .offset:         180
        .size:           2
        .value_kind:     hidden_group_size_x
      - .offset:         182
        .size:           2
        .value_kind:     hidden_group_size_y
      - .offset:         184
        .size:           2
        .value_kind:     hidden_group_size_z
      - .offset:         186
        .size:           2
        .value_kind:     hidden_remainder_x
      - .offset:         188
        .size:           2
        .value_kind:     hidden_remainder_y
      - .offset:         190
        .size:           2
        .value_kind:     hidden_remainder_z
      - .offset:         208
        .size:           8
        .value_kind:     hidden_global_offset_x
      - .offset:         216
        .size:           8
        .value_kind:     hidden_global_offset_y
      - .offset:         224
        .size:           8
        .value_kind:     hidden_global_offset_z
      - .offset:         232
        .size:           2
        .value_kind:     hidden_grid_dims
    .group_segment_fixed_size: 0
    .kernarg_segment_align: 8
    .kernarg_segment_size: 424
    .language:       OpenCL C
    .language_version:
      - 2
      - 0
    .max_flat_workgroup_size: 1024
    .name:           _ZN9rocsolver6v33100L16mfma_gemm_kernelI19rocblas_complex_numIdElPKS3_PKPS3_S6_S8_EEv18rocblas_operation_S9_T0_SA_SA_T1_T2_lSA_SA_lT3_lSA_SA_lSB_T4_lSA_SA_l
    .private_segment_fixed_size: 0
    .sgpr_count:     62
    .sgpr_spill_count: 0
    .symbol:         _ZN9rocsolver6v33100L16mfma_gemm_kernelI19rocblas_complex_numIdElPKS3_PKPS3_S6_S8_EEv18rocblas_operation_S9_T0_SA_SA_T1_T2_lSA_SA_lT3_lSA_SA_lSB_T4_lSA_SA_l.kd
    .uniform_work_group_size: 1
    .uses_dynamic_stack: false
    .vgpr_count:     70
    .vgpr_spill_count: 0
    .wavefront_size: 64
  - .agpr_count:     0
    .args:
      - .offset:         0
        .size:           4
        .value_kind:     by_value
      - .offset:         4
        .size:           4
        .value_kind:     by_value
      - .offset:         8
        .size:           8
        .value_kind:     by_value
      - .offset:         16
        .size:           8
        .value_kind:     by_value
      - .offset:         24
        .size:           8
        .value_kind:     by_value
      - .offset:         32
        .size:           16
        .value_kind:     by_value
      - .address_space:  global
        .offset:         48
        .size:           8
        .value_kind:     global_buffer
      - .offset:         56
        .size:           8
        .value_kind:     by_value
      - .offset:         64
        .size:           8
        .value_kind:     by_value
      - .offset:         72
        .size:           8
        .value_kind:     by_value
      - .offset:         80
        .size:           8
        .value_kind:     by_value
      - .address_space:  global
        .offset:         88
        .size:           8
        .value_kind:     global_buffer
      - .offset:         96
        .size:           8
        .value_kind:     by_value
      - .offset:         104
        .size:           8
        .value_kind:     by_value
      - .offset:         112
        .size:           8
        .value_kind:     by_value
      - .offset:         120
        .size:           8
        .value_kind:     by_value
      - .offset:         128
        .size:           16
        .value_kind:     by_value
      - .address_space:  global
        .offset:         144
        .size:           8
        .value_kind:     global_buffer
      - .offset:         152
        .size:           8
        .value_kind:     by_value
      - .offset:         160
        .size:           8
        .value_kind:     by_value
      - .offset:         168
        .size:           8
        .value_kind:     by_value
      - .offset:         176
        .size:           8
        .value_kind:     by_value
      - .offset:         184
        .size:           4
        .value_kind:     hidden_block_count_x
      - .offset:         188
        .size:           4
        .value_kind:     hidden_block_count_y
      - .offset:         192
        .size:           4
        .value_kind:     hidden_block_count_z
      - .offset:         196
        .size:           2
        .value_kind:     hidden_group_size_x
      - .offset:         198
        .size:           2
        .value_kind:     hidden_group_size_y
      - .offset:         200
        .size:           2
        .value_kind:     hidden_group_size_z
      - .offset:         202
        .size:           2
        .value_kind:     hidden_remainder_x
      - .offset:         204
        .size:           2
        .value_kind:     hidden_remainder_y
      - .offset:         206
        .size:           2
        .value_kind:     hidden_remainder_z
      - .offset:         224
        .size:           8
        .value_kind:     hidden_global_offset_x
      - .offset:         232
        .size:           8
        .value_kind:     hidden_global_offset_y
      - .offset:         240
        .size:           8
        .value_kind:     hidden_global_offset_z
      - .offset:         248
        .size:           2
        .value_kind:     hidden_grid_dims
    .group_segment_fixed_size: 0
    .kernarg_segment_align: 8
    .kernarg_segment_size: 440
    .language:       OpenCL C
    .language_version:
      - 2
      - 0
    .max_flat_workgroup_size: 1024
    .name:           _ZN9rocsolver6v33100L16mfma_gemm_kernelI19rocblas_complex_numIdElS3_PKPS3_S4_S6_EEv18rocblas_operation_S7_T0_S8_S8_T1_T2_lS8_S8_lT3_lS8_S8_lS9_T4_lS8_S8_l
    .private_segment_fixed_size: 0
    .sgpr_count:     60
    .sgpr_spill_count: 0
    .symbol:         _ZN9rocsolver6v33100L16mfma_gemm_kernelI19rocblas_complex_numIdElS3_PKPS3_S4_S6_EEv18rocblas_operation_S7_T0_S8_S8_T1_T2_lS8_S8_lT3_lS8_S8_lS9_T4_lS8_S8_l.kd
    .uniform_work_group_size: 1
    .uses_dynamic_stack: false
    .vgpr_count:     70
    .vgpr_spill_count: 0
    .wavefront_size: 64
  - .agpr_count:     0
    .args:
      - .offset:         0
        .size:           8
        .value_kind:     by_value
      - .offset:         8
        .size:           8
        .value_kind:     by_value
      - .offset:         16
        .size:           8
        .value_kind:     by_value
      - .address_space:  global
        .offset:         24
        .size:           8
        .value_kind:     global_buffer
      - .offset:         32
        .size:           1
        .value_kind:     by_value
      - .address_space:  global
        .offset:         40
        .size:           8
        .value_kind:     global_buffer
      - .offset:         48
        .size:           8
        .value_kind:     by_value
      - .offset:         56
        .size:           8
        .value_kind:     by_value
      - .offset:         64
        .size:           8
        .value_kind:     by_value
      - .offset:         72
        .size:           8
        .value_kind:     by_value
      - .offset:         80
        .size:           1
        .value_kind:     by_value
      - .address_space:  global
        .offset:         88
        .size:           8
        .value_kind:     global_buffer
      - .offset:         96
        .size:           8
        .value_kind:     by_value
      - .offset:         104
        .size:           8
        .value_kind:     by_value
      - .offset:         112
        .size:           8
        .value_kind:     by_value
      - .offset:         120
        .size:           8
        .value_kind:     by_value
      - .address_space:  global
        .offset:         128
        .size:           8
        .value_kind:     global_buffer
      - .address_space:  global
        .offset:         136
        .size:           8
        .value_kind:     global_buffer
      - .offset:         144
        .size:           8
        .value_kind:     by_value
      - .offset:         152
        .size:           8
        .value_kind:     by_value
      - .offset:         160
        .size:           8
        .value_kind:     by_value
      - .offset:         168
        .size:           8
        .value_kind:     by_value
      - .offset:         176
        .size:           4
        .value_kind:     hidden_block_count_x
      - .offset:         180
        .size:           4
        .value_kind:     hidden_block_count_y
      - .offset:         184
        .size:           4
        .value_kind:     hidden_block_count_z
      - .offset:         188
        .size:           2
        .value_kind:     hidden_group_size_x
      - .offset:         190
        .size:           2
        .value_kind:     hidden_group_size_y
      - .offset:         192
        .size:           2
        .value_kind:     hidden_group_size_z
      - .offset:         194
        .size:           2
        .value_kind:     hidden_remainder_x
      - .offset:         196
        .size:           2
        .value_kind:     hidden_remainder_y
      - .offset:         198
        .size:           2
        .value_kind:     hidden_remainder_z
      - .offset:         216
        .size:           8
        .value_kind:     hidden_global_offset_x
      - .offset:         224
        .size:           8
        .value_kind:     hidden_global_offset_y
      - .offset:         232
        .size:           8
        .value_kind:     hidden_global_offset_z
      - .offset:         240
        .size:           2
        .value_kind:     hidden_grid_dims
    .group_segment_fixed_size: 0
    .kernarg_segment_align: 8
    .kernarg_segment_size: 432
    .language:       OpenCL C
    .language_version:
      - 2
      - 0
    .max_flat_workgroup_size: 1024
    .name:           _ZN9rocsolver6v33100L11gemm_kernelI19rocblas_complex_numIdElPKS3_PKPS3_S6_S8_EEvT0_S9_S9_T1_bT2_lS9_S9_lbT3_lS9_S9_lSA_T4_lS9_S9_l
    .private_segment_fixed_size: 0
    .sgpr_count:     48
    .sgpr_spill_count: 0
    .symbol:         _ZN9rocsolver6v33100L11gemm_kernelI19rocblas_complex_numIdElPKS3_PKPS3_S6_S8_EEvT0_S9_S9_T1_bT2_lS9_S9_lbT3_lS9_S9_lSA_T4_lS9_S9_l.kd
    .uniform_work_group_size: 1
    .uses_dynamic_stack: false
    .vgpr_count:     24
    .vgpr_spill_count: 0
    .wavefront_size: 64
  - .agpr_count:     0
    .args:
      - .offset:         0
        .size:           8
        .value_kind:     by_value
      - .offset:         8
        .size:           8
        .value_kind:     by_value
      - .offset:         16
        .size:           8
        .value_kind:     by_value
      - .offset:         24
        .size:           16
        .value_kind:     by_value
      - .offset:         40
        .size:           1
        .value_kind:     by_value
      - .address_space:  global
        .offset:         48
        .size:           8
        .value_kind:     global_buffer
      - .offset:         56
        .size:           8
        .value_kind:     by_value
      - .offset:         64
        .size:           8
        .value_kind:     by_value
      - .offset:         72
        .size:           8
        .value_kind:     by_value
      - .offset:         80
        .size:           8
        .value_kind:     by_value
      - .offset:         88
        .size:           1
        .value_kind:     by_value
      - .address_space:  global
        .offset:         96
        .size:           8
        .value_kind:     global_buffer
      - .offset:         104
        .size:           8
        .value_kind:     by_value
      - .offset:         112
        .size:           8
        .value_kind:     by_value
      - .offset:         120
        .size:           8
        .value_kind:     by_value
      - .offset:         128
        .size:           8
        .value_kind:     by_value
      - .offset:         136
        .size:           16
        .value_kind:     by_value
      - .address_space:  global
        .offset:         152
        .size:           8
        .value_kind:     global_buffer
      - .offset:         160
        .size:           8
        .value_kind:     by_value
      - .offset:         168
        .size:           8
        .value_kind:     by_value
      - .offset:         176
        .size:           8
        .value_kind:     by_value
      - .offset:         184
        .size:           8
        .value_kind:     by_value
      - .offset:         192
        .size:           4
        .value_kind:     hidden_block_count_x
      - .offset:         196
        .size:           4
        .value_kind:     hidden_block_count_y
      - .offset:         200
        .size:           4
        .value_kind:     hidden_block_count_z
      - .offset:         204
        .size:           2
        .value_kind:     hidden_group_size_x
      - .offset:         206
        .size:           2
        .value_kind:     hidden_group_size_y
      - .offset:         208
        .size:           2
        .value_kind:     hidden_group_size_z
      - .offset:         210
        .size:           2
        .value_kind:     hidden_remainder_x
      - .offset:         212
        .size:           2
        .value_kind:     hidden_remainder_y
      - .offset:         214
        .size:           2
        .value_kind:     hidden_remainder_z
      - .offset:         232
        .size:           8
        .value_kind:     hidden_global_offset_x
      - .offset:         240
        .size:           8
        .value_kind:     hidden_global_offset_y
      - .offset:         248
        .size:           8
        .value_kind:     hidden_global_offset_z
      - .offset:         256
        .size:           2
        .value_kind:     hidden_grid_dims
    .group_segment_fixed_size: 0
    .kernarg_segment_align: 8
    .kernarg_segment_size: 448
    .language:       OpenCL C
    .language_version:
      - 2
      - 0
    .max_flat_workgroup_size: 1024
    .name:           _ZN9rocsolver6v33100L11gemm_kernelI19rocblas_complex_numIdElS3_PKPS3_S4_S6_EEvT0_S7_S7_T1_bT2_lS7_S7_lbT3_lS7_S7_lS8_T4_lS7_S7_l
    .private_segment_fixed_size: 0
    .sgpr_count:     48
    .sgpr_spill_count: 0
    .symbol:         _ZN9rocsolver6v33100L11gemm_kernelI19rocblas_complex_numIdElS3_PKPS3_S4_S6_EEvT0_S7_S7_T1_bT2_lS7_S7_lbT3_lS7_S7_lS8_T4_lS7_S7_l.kd
    .uniform_work_group_size: 1
    .uses_dynamic_stack: false
    .vgpr_count:     24
    .vgpr_spill_count: 0
    .wavefront_size: 64
  - .agpr_count:     0
    .args:
      - .offset:         0
        .size:           4
        .value_kind:     by_value
      - .offset:         4
        .size:           4
        .value_kind:     by_value
      - .offset:         8
        .size:           8
        .value_kind:     by_value
      - .offset:         16
        .size:           8
        .value_kind:     by_value
      - .offset:         24
        .size:           8
        .value_kind:     by_value
      - .address_space:  global
        .offset:         32
        .size:           8
        .value_kind:     global_buffer
      - .address_space:  global
        .offset:         40
        .size:           8
        .value_kind:     global_buffer
      - .offset:         48
        .size:           8
        .value_kind:     by_value
      - .offset:         56
        .size:           8
        .value_kind:     by_value
      - .offset:         64
        .size:           8
        .value_kind:     by_value
      - .offset:         72
        .size:           8
        .value_kind:     by_value
      - .address_space:  global
        .offset:         80
        .size:           8
        .value_kind:     global_buffer
      - .offset:         88
        .size:           8
        .value_kind:     by_value
      - .offset:         96
        .size:           8
        .value_kind:     by_value
      - .offset:         104
        .size:           8
        .value_kind:     by_value
      - .offset:         112
        .size:           8
        .value_kind:     by_value
      - .address_space:  global
        .offset:         120
        .size:           8
        .value_kind:     global_buffer
      - .address_space:  global
        .offset:         128
        .size:           8
        .value_kind:     global_buffer
      - .offset:         136
        .size:           8
        .value_kind:     by_value
      - .offset:         144
        .size:           8
        .value_kind:     by_value
      - .offset:         152
        .size:           8
        .value_kind:     by_value
      - .offset:         160
        .size:           8
        .value_kind:     by_value
      - .offset:         168
        .size:           4
        .value_kind:     hidden_block_count_x
      - .offset:         172
        .size:           4
        .value_kind:     hidden_block_count_y
      - .offset:         176
        .size:           4
        .value_kind:     hidden_block_count_z
      - .offset:         180
        .size:           2
        .value_kind:     hidden_group_size_x
      - .offset:         182
        .size:           2
        .value_kind:     hidden_group_size_y
      - .offset:         184
        .size:           2
        .value_kind:     hidden_group_size_z
      - .offset:         186
        .size:           2
        .value_kind:     hidden_remainder_x
      - .offset:         188
        .size:           2
        .value_kind:     hidden_remainder_y
      - .offset:         190
        .size:           2
        .value_kind:     hidden_remainder_z
      - .offset:         208
        .size:           8
        .value_kind:     hidden_global_offset_x
      - .offset:         216
        .size:           8
        .value_kind:     hidden_global_offset_y
      - .offset:         224
        .size:           8
        .value_kind:     hidden_global_offset_z
      - .offset:         232
        .size:           2
        .value_kind:     hidden_grid_dims
    .group_segment_fixed_size: 0
    .kernarg_segment_align: 8
    .kernarg_segment_size: 424
    .language:       OpenCL C
    .language_version:
      - 2
      - 0
    .max_flat_workgroup_size: 1024
    .name:           _ZN9rocsolver6v33100L16mfma_gemm_kernelI19rocblas_complex_numIdElPKS3_PKPS3_S8_S6_EEv18rocblas_operation_S9_T0_SA_SA_T1_T2_lSA_SA_lT3_lSA_SA_lSB_T4_lSA_SA_l
    .private_segment_fixed_size: 0
    .sgpr_count:     64
    .sgpr_spill_count: 0
    .symbol:         _ZN9rocsolver6v33100L16mfma_gemm_kernelI19rocblas_complex_numIdElPKS3_PKPS3_S8_S6_EEv18rocblas_operation_S9_T0_SA_SA_T1_T2_lSA_SA_lT3_lSA_SA_lSB_T4_lSA_SA_l.kd
    .uniform_work_group_size: 1
    .uses_dynamic_stack: false
    .vgpr_count:     70
    .vgpr_spill_count: 0
    .wavefront_size: 64
  - .agpr_count:     0
    .args:
      - .offset:         0
        .size:           4
        .value_kind:     by_value
      - .offset:         4
        .size:           4
        .value_kind:     by_value
      - .offset:         8
        .size:           8
        .value_kind:     by_value
      - .offset:         16
        .size:           8
        .value_kind:     by_value
      - .offset:         24
        .size:           8
        .value_kind:     by_value
      - .offset:         32
        .size:           16
        .value_kind:     by_value
      - .address_space:  global
        .offset:         48
        .size:           8
        .value_kind:     global_buffer
      - .offset:         56
        .size:           8
        .value_kind:     by_value
      - .offset:         64
        .size:           8
        .value_kind:     by_value
      - .offset:         72
        .size:           8
        .value_kind:     by_value
      - .offset:         80
        .size:           8
        .value_kind:     by_value
      - .address_space:  global
        .offset:         88
        .size:           8
        .value_kind:     global_buffer
      - .offset:         96
        .size:           8
        .value_kind:     by_value
      - .offset:         104
        .size:           8
        .value_kind:     by_value
      - .offset:         112
        .size:           8
        .value_kind:     by_value
      - .offset:         120
        .size:           8
        .value_kind:     by_value
      - .offset:         128
        .size:           16
        .value_kind:     by_value
      - .address_space:  global
        .offset:         144
        .size:           8
        .value_kind:     global_buffer
      - .offset:         152
        .size:           8
        .value_kind:     by_value
      - .offset:         160
        .size:           8
        .value_kind:     by_value
      - .offset:         168
        .size:           8
        .value_kind:     by_value
      - .offset:         176
        .size:           8
        .value_kind:     by_value
      - .offset:         184
        .size:           4
        .value_kind:     hidden_block_count_x
      - .offset:         188
        .size:           4
        .value_kind:     hidden_block_count_y
      - .offset:         192
        .size:           4
        .value_kind:     hidden_block_count_z
      - .offset:         196
        .size:           2
        .value_kind:     hidden_group_size_x
      - .offset:         198
        .size:           2
        .value_kind:     hidden_group_size_y
      - .offset:         200
        .size:           2
        .value_kind:     hidden_group_size_z
      - .offset:         202
        .size:           2
        .value_kind:     hidden_remainder_x
      - .offset:         204
        .size:           2
        .value_kind:     hidden_remainder_y
      - .offset:         206
        .size:           2
        .value_kind:     hidden_remainder_z
      - .offset:         224
        .size:           8
        .value_kind:     hidden_global_offset_x
      - .offset:         232
        .size:           8
        .value_kind:     hidden_global_offset_y
      - .offset:         240
        .size:           8
        .value_kind:     hidden_global_offset_z
      - .offset:         248
        .size:           2
        .value_kind:     hidden_grid_dims
    .group_segment_fixed_size: 0
    .kernarg_segment_align: 8
    .kernarg_segment_size: 440
    .language:       OpenCL C
    .language_version:
      - 2
      - 0
    .max_flat_workgroup_size: 1024
    .name:           _ZN9rocsolver6v33100L16mfma_gemm_kernelI19rocblas_complex_numIdElS3_PKPS3_S6_S4_EEv18rocblas_operation_S7_T0_S8_S8_T1_T2_lS8_S8_lT3_lS8_S8_lS9_T4_lS8_S8_l
    .private_segment_fixed_size: 0
    .sgpr_count:     64
    .sgpr_spill_count: 0
    .symbol:         _ZN9rocsolver6v33100L16mfma_gemm_kernelI19rocblas_complex_numIdElS3_PKPS3_S6_S4_EEv18rocblas_operation_S7_T0_S8_S8_T1_T2_lS8_S8_lT3_lS8_S8_lS9_T4_lS8_S8_l.kd
    .uniform_work_group_size: 1
    .uses_dynamic_stack: false
    .vgpr_count:     70
    .vgpr_spill_count: 0
    .wavefront_size: 64
  - .agpr_count:     0
    .args:
      - .offset:         0
        .size:           8
        .value_kind:     by_value
      - .offset:         8
        .size:           8
        .value_kind:     by_value
      - .offset:         16
        .size:           8
        .value_kind:     by_value
      - .address_space:  global
        .offset:         24
        .size:           8
        .value_kind:     global_buffer
      - .offset:         32
        .size:           1
        .value_kind:     by_value
      - .address_space:  global
        .offset:         40
        .size:           8
        .value_kind:     global_buffer
      - .offset:         48
        .size:           8
        .value_kind:     by_value
      - .offset:         56
        .size:           8
        .value_kind:     by_value
      - .offset:         64
        .size:           8
        .value_kind:     by_value
      - .offset:         72
        .size:           8
        .value_kind:     by_value
      - .offset:         80
        .size:           1
        .value_kind:     by_value
      - .address_space:  global
        .offset:         88
        .size:           8
        .value_kind:     global_buffer
      - .offset:         96
        .size:           8
        .value_kind:     by_value
      - .offset:         104
        .size:           8
        .value_kind:     by_value
      - .offset:         112
        .size:           8
        .value_kind:     by_value
      - .offset:         120
        .size:           8
        .value_kind:     by_value
      - .address_space:  global
        .offset:         128
        .size:           8
        .value_kind:     global_buffer
      - .address_space:  global
        .offset:         136
        .size:           8
        .value_kind:     global_buffer
      - .offset:         144
        .size:           8
        .value_kind:     by_value
      - .offset:         152
        .size:           8
        .value_kind:     by_value
      - .offset:         160
        .size:           8
        .value_kind:     by_value
      - .offset:         168
        .size:           8
        .value_kind:     by_value
      - .offset:         176
        .size:           4
        .value_kind:     hidden_block_count_x
      - .offset:         180
        .size:           4
        .value_kind:     hidden_block_count_y
      - .offset:         184
        .size:           4
        .value_kind:     hidden_block_count_z
      - .offset:         188
        .size:           2
        .value_kind:     hidden_group_size_x
      - .offset:         190
        .size:           2
        .value_kind:     hidden_group_size_y
      - .offset:         192
        .size:           2
        .value_kind:     hidden_group_size_z
      - .offset:         194
        .size:           2
        .value_kind:     hidden_remainder_x
      - .offset:         196
        .size:           2
        .value_kind:     hidden_remainder_y
      - .offset:         198
        .size:           2
        .value_kind:     hidden_remainder_z
      - .offset:         216
        .size:           8
        .value_kind:     hidden_global_offset_x
      - .offset:         224
        .size:           8
        .value_kind:     hidden_global_offset_y
      - .offset:         232
        .size:           8
        .value_kind:     hidden_global_offset_z
      - .offset:         240
        .size:           2
        .value_kind:     hidden_grid_dims
    .group_segment_fixed_size: 0
    .kernarg_segment_align: 8
    .kernarg_segment_size: 432
    .language:       OpenCL C
    .language_version:
      - 2
      - 0
    .max_flat_workgroup_size: 1024
    .name:           _ZN9rocsolver6v33100L11gemm_kernelI19rocblas_complex_numIdElPKS3_PKPS3_S8_S6_EEvT0_S9_S9_T1_bT2_lS9_S9_lbT3_lS9_S9_lSA_T4_lS9_S9_l
    .private_segment_fixed_size: 0
    .sgpr_count:     52
    .sgpr_spill_count: 0
    .symbol:         _ZN9rocsolver6v33100L11gemm_kernelI19rocblas_complex_numIdElPKS3_PKPS3_S8_S6_EEvT0_S9_S9_T1_bT2_lS9_S9_lbT3_lS9_S9_lSA_T4_lS9_S9_l.kd
    .uniform_work_group_size: 1
    .uses_dynamic_stack: false
    .vgpr_count:     24
    .vgpr_spill_count: 0
    .wavefront_size: 64
  - .agpr_count:     0
    .args:
      - .offset:         0
        .size:           8
        .value_kind:     by_value
      - .offset:         8
        .size:           8
        .value_kind:     by_value
      - .offset:         16
        .size:           8
        .value_kind:     by_value
      - .offset:         24
        .size:           16
        .value_kind:     by_value
      - .offset:         40
        .size:           1
        .value_kind:     by_value
      - .address_space:  global
        .offset:         48
        .size:           8
        .value_kind:     global_buffer
      - .offset:         56
        .size:           8
        .value_kind:     by_value
      - .offset:         64
        .size:           8
        .value_kind:     by_value
      - .offset:         72
        .size:           8
        .value_kind:     by_value
      - .offset:         80
        .size:           8
        .value_kind:     by_value
      - .offset:         88
        .size:           1
        .value_kind:     by_value
      - .address_space:  global
        .offset:         96
        .size:           8
        .value_kind:     global_buffer
      - .offset:         104
        .size:           8
        .value_kind:     by_value
      - .offset:         112
        .size:           8
        .value_kind:     by_value
      - .offset:         120
        .size:           8
        .value_kind:     by_value
      - .offset:         128
        .size:           8
        .value_kind:     by_value
      - .offset:         136
        .size:           16
        .value_kind:     by_value
      - .address_space:  global
        .offset:         152
        .size:           8
        .value_kind:     global_buffer
      - .offset:         160
        .size:           8
        .value_kind:     by_value
      - .offset:         168
        .size:           8
        .value_kind:     by_value
      - .offset:         176
        .size:           8
        .value_kind:     by_value
      - .offset:         184
        .size:           8
        .value_kind:     by_value
      - .offset:         192
        .size:           4
        .value_kind:     hidden_block_count_x
      - .offset:         196
        .size:           4
        .value_kind:     hidden_block_count_y
      - .offset:         200
        .size:           4
        .value_kind:     hidden_block_count_z
      - .offset:         204
        .size:           2
        .value_kind:     hidden_group_size_x
      - .offset:         206
        .size:           2
        .value_kind:     hidden_group_size_y
      - .offset:         208
        .size:           2
        .value_kind:     hidden_group_size_z
      - .offset:         210
        .size:           2
        .value_kind:     hidden_remainder_x
      - .offset:         212
        .size:           2
        .value_kind:     hidden_remainder_y
      - .offset:         214
        .size:           2
        .value_kind:     hidden_remainder_z
      - .offset:         232
        .size:           8
        .value_kind:     hidden_global_offset_x
      - .offset:         240
        .size:           8
        .value_kind:     hidden_global_offset_y
      - .offset:         248
        .size:           8
        .value_kind:     hidden_global_offset_z
      - .offset:         256
        .size:           2
        .value_kind:     hidden_grid_dims
    .group_segment_fixed_size: 0
    .kernarg_segment_align: 8
    .kernarg_segment_size: 448
    .language:       OpenCL C
    .language_version:
      - 2
      - 0
    .max_flat_workgroup_size: 1024
    .name:           _ZN9rocsolver6v33100L11gemm_kernelI19rocblas_complex_numIdElS3_PKPS3_S6_S4_EEvT0_S7_S7_T1_bT2_lS7_S7_lbT3_lS7_S7_lS8_T4_lS7_S7_l
    .private_segment_fixed_size: 0
    .sgpr_count:     56
    .sgpr_spill_count: 0
    .symbol:         _ZN9rocsolver6v33100L11gemm_kernelI19rocblas_complex_numIdElS3_PKPS3_S6_S4_EEvT0_S7_S7_T1_bT2_lS7_S7_lbT3_lS7_S7_lS8_T4_lS7_S7_l.kd
    .uniform_work_group_size: 1
    .uses_dynamic_stack: false
    .vgpr_count:     24
    .vgpr_spill_count: 0
    .wavefront_size: 64
  - .agpr_count:     0
    .args:
      - .offset:         0
        .size:           4
        .value_kind:     by_value
      - .offset:         4
        .size:           4
        .value_kind:     by_value
      - .offset:         8
        .size:           8
        .value_kind:     by_value
      - .offset:         16
        .size:           8
        .value_kind:     by_value
      - .offset:         24
        .size:           8
        .value_kind:     by_value
      - .address_space:  global
        .offset:         32
        .size:           8
        .value_kind:     global_buffer
      - .address_space:  global
        .offset:         40
        .size:           8
        .value_kind:     global_buffer
      - .offset:         48
        .size:           8
        .value_kind:     by_value
      - .offset:         56
        .size:           8
        .value_kind:     by_value
      - .offset:         64
        .size:           8
        .value_kind:     by_value
      - .offset:         72
        .size:           8
        .value_kind:     by_value
      - .address_space:  global
        .offset:         80
        .size:           8
        .value_kind:     global_buffer
      - .offset:         88
        .size:           8
        .value_kind:     by_value
      - .offset:         96
        .size:           8
        .value_kind:     by_value
      - .offset:         104
        .size:           8
        .value_kind:     by_value
      - .offset:         112
        .size:           8
        .value_kind:     by_value
      - .address_space:  global
        .offset:         120
        .size:           8
        .value_kind:     global_buffer
      - .address_space:  global
        .offset:         128
        .size:           8
        .value_kind:     global_buffer
      - .offset:         136
        .size:           8
        .value_kind:     by_value
      - .offset:         144
        .size:           8
        .value_kind:     by_value
      - .offset:         152
        .size:           8
        .value_kind:     by_value
      - .offset:         160
        .size:           8
        .value_kind:     by_value
      - .offset:         168
        .size:           4
        .value_kind:     hidden_block_count_x
      - .offset:         172
        .size:           4
        .value_kind:     hidden_block_count_y
      - .offset:         176
        .size:           4
        .value_kind:     hidden_block_count_z
      - .offset:         180
        .size:           2
        .value_kind:     hidden_group_size_x
      - .offset:         182
        .size:           2
        .value_kind:     hidden_group_size_y
      - .offset:         184
        .size:           2
        .value_kind:     hidden_group_size_z
      - .offset:         186
        .size:           2
        .value_kind:     hidden_remainder_x
      - .offset:         188
        .size:           2
        .value_kind:     hidden_remainder_y
      - .offset:         190
        .size:           2
        .value_kind:     hidden_remainder_z
      - .offset:         208
        .size:           8
        .value_kind:     hidden_global_offset_x
      - .offset:         216
        .size:           8
        .value_kind:     hidden_global_offset_y
      - .offset:         224
        .size:           8
        .value_kind:     hidden_global_offset_z
      - .offset:         232
        .size:           2
        .value_kind:     hidden_grid_dims
    .group_segment_fixed_size: 0
    .kernarg_segment_align: 8
    .kernarg_segment_size: 424
    .language:       OpenCL C
    .language_version:
      - 2
      - 0
    .max_flat_workgroup_size: 1024
    .name:           _ZN9rocsolver6v33100L16mfma_gemm_kernelI19rocblas_complex_numIdElPKS3_PKPS3_S6_S6_EEv18rocblas_operation_S9_T0_SA_SA_T1_T2_lSA_SA_lT3_lSA_SA_lSB_T4_lSA_SA_l
    .private_segment_fixed_size: 0
    .sgpr_count:     63
    .sgpr_spill_count: 0
    .symbol:         _ZN9rocsolver6v33100L16mfma_gemm_kernelI19rocblas_complex_numIdElPKS3_PKPS3_S6_S6_EEv18rocblas_operation_S9_T0_SA_SA_T1_T2_lSA_SA_lT3_lSA_SA_lSB_T4_lSA_SA_l.kd
    .uniform_work_group_size: 1
    .uses_dynamic_stack: false
    .vgpr_count:     70
    .vgpr_spill_count: 0
    .wavefront_size: 64
  - .agpr_count:     0
    .args:
      - .offset:         0
        .size:           4
        .value_kind:     by_value
      - .offset:         4
        .size:           4
        .value_kind:     by_value
      - .offset:         8
        .size:           8
        .value_kind:     by_value
      - .offset:         16
        .size:           8
        .value_kind:     by_value
      - .offset:         24
        .size:           8
        .value_kind:     by_value
      - .offset:         32
        .size:           16
        .value_kind:     by_value
      - .address_space:  global
        .offset:         48
        .size:           8
        .value_kind:     global_buffer
      - .offset:         56
        .size:           8
        .value_kind:     by_value
      - .offset:         64
        .size:           8
        .value_kind:     by_value
      - .offset:         72
        .size:           8
        .value_kind:     by_value
      - .offset:         80
        .size:           8
        .value_kind:     by_value
      - .address_space:  global
        .offset:         88
        .size:           8
        .value_kind:     global_buffer
      - .offset:         96
        .size:           8
        .value_kind:     by_value
      - .offset:         104
        .size:           8
        .value_kind:     by_value
      - .offset:         112
        .size:           8
        .value_kind:     by_value
      - .offset:         120
        .size:           8
        .value_kind:     by_value
      - .offset:         128
        .size:           16
        .value_kind:     by_value
      - .address_space:  global
        .offset:         144
        .size:           8
        .value_kind:     global_buffer
      - .offset:         152
        .size:           8
        .value_kind:     by_value
      - .offset:         160
        .size:           8
        .value_kind:     by_value
      - .offset:         168
        .size:           8
        .value_kind:     by_value
      - .offset:         176
        .size:           8
        .value_kind:     by_value
      - .offset:         184
        .size:           4
        .value_kind:     hidden_block_count_x
      - .offset:         188
        .size:           4
        .value_kind:     hidden_block_count_y
      - .offset:         192
        .size:           4
        .value_kind:     hidden_block_count_z
      - .offset:         196
        .size:           2
        .value_kind:     hidden_group_size_x
      - .offset:         198
        .size:           2
        .value_kind:     hidden_group_size_y
      - .offset:         200
        .size:           2
        .value_kind:     hidden_group_size_z
      - .offset:         202
        .size:           2
        .value_kind:     hidden_remainder_x
      - .offset:         204
        .size:           2
        .value_kind:     hidden_remainder_y
      - .offset:         206
        .size:           2
        .value_kind:     hidden_remainder_z
      - .offset:         224
        .size:           8
        .value_kind:     hidden_global_offset_x
      - .offset:         232
        .size:           8
        .value_kind:     hidden_global_offset_y
      - .offset:         240
        .size:           8
        .value_kind:     hidden_global_offset_z
      - .offset:         248
        .size:           2
        .value_kind:     hidden_grid_dims
    .group_segment_fixed_size: 0
    .kernarg_segment_align: 8
    .kernarg_segment_size: 440
    .language:       OpenCL C
    .language_version:
      - 2
      - 0
    .max_flat_workgroup_size: 1024
    .name:           _ZN9rocsolver6v33100L16mfma_gemm_kernelI19rocblas_complex_numIdElS3_PKPS3_S4_S4_EEv18rocblas_operation_S7_T0_S8_S8_T1_T2_lS8_S8_lT3_lS8_S8_lS9_T4_lS8_S8_l
    .private_segment_fixed_size: 0
    .sgpr_count:     61
    .sgpr_spill_count: 0
    .symbol:         _ZN9rocsolver6v33100L16mfma_gemm_kernelI19rocblas_complex_numIdElS3_PKPS3_S4_S4_EEv18rocblas_operation_S7_T0_S8_S8_T1_T2_lS8_S8_lT3_lS8_S8_lS9_T4_lS8_S8_l.kd
    .uniform_work_group_size: 1
    .uses_dynamic_stack: false
    .vgpr_count:     70
    .vgpr_spill_count: 0
    .wavefront_size: 64
  - .agpr_count:     0
    .args:
      - .offset:         0
        .size:           8
        .value_kind:     by_value
      - .offset:         8
        .size:           8
        .value_kind:     by_value
      - .offset:         16
        .size:           8
        .value_kind:     by_value
      - .address_space:  global
        .offset:         24
        .size:           8
        .value_kind:     global_buffer
      - .offset:         32
        .size:           1
        .value_kind:     by_value
      - .address_space:  global
        .offset:         40
        .size:           8
        .value_kind:     global_buffer
      - .offset:         48
        .size:           8
        .value_kind:     by_value
      - .offset:         56
        .size:           8
        .value_kind:     by_value
      - .offset:         64
        .size:           8
        .value_kind:     by_value
      - .offset:         72
        .size:           8
        .value_kind:     by_value
      - .offset:         80
        .size:           1
        .value_kind:     by_value
      - .address_space:  global
        .offset:         88
        .size:           8
        .value_kind:     global_buffer
      - .offset:         96
        .size:           8
        .value_kind:     by_value
      - .offset:         104
        .size:           8
        .value_kind:     by_value
      - .offset:         112
        .size:           8
        .value_kind:     by_value
      - .offset:         120
        .size:           8
        .value_kind:     by_value
      - .address_space:  global
        .offset:         128
        .size:           8
        .value_kind:     global_buffer
      - .address_space:  global
        .offset:         136
        .size:           8
        .value_kind:     global_buffer
      - .offset:         144
        .size:           8
        .value_kind:     by_value
      - .offset:         152
        .size:           8
        .value_kind:     by_value
      - .offset:         160
        .size:           8
        .value_kind:     by_value
      - .offset:         168
        .size:           8
        .value_kind:     by_value
      - .offset:         176
        .size:           4
        .value_kind:     hidden_block_count_x
      - .offset:         180
        .size:           4
        .value_kind:     hidden_block_count_y
      - .offset:         184
        .size:           4
        .value_kind:     hidden_block_count_z
      - .offset:         188
        .size:           2
        .value_kind:     hidden_group_size_x
      - .offset:         190
        .size:           2
        .value_kind:     hidden_group_size_y
      - .offset:         192
        .size:           2
        .value_kind:     hidden_group_size_z
      - .offset:         194
        .size:           2
        .value_kind:     hidden_remainder_x
      - .offset:         196
        .size:           2
        .value_kind:     hidden_remainder_y
      - .offset:         198
        .size:           2
        .value_kind:     hidden_remainder_z
      - .offset:         216
        .size:           8
        .value_kind:     hidden_global_offset_x
      - .offset:         224
        .size:           8
        .value_kind:     hidden_global_offset_y
      - .offset:         232
        .size:           8
        .value_kind:     hidden_global_offset_z
      - .offset:         240
        .size:           2
        .value_kind:     hidden_grid_dims
    .group_segment_fixed_size: 0
    .kernarg_segment_align: 8
    .kernarg_segment_size: 432
    .language:       OpenCL C
    .language_version:
      - 2
      - 0
    .max_flat_workgroup_size: 1024
    .name:           _ZN9rocsolver6v33100L11gemm_kernelI19rocblas_complex_numIdElPKS3_PKPS3_S6_S6_EEvT0_S9_S9_T1_bT2_lS9_S9_lbT3_lS9_S9_lSA_T4_lS9_S9_l
    .private_segment_fixed_size: 0
    .sgpr_count:     48
    .sgpr_spill_count: 0
    .symbol:         _ZN9rocsolver6v33100L11gemm_kernelI19rocblas_complex_numIdElPKS3_PKPS3_S6_S6_EEvT0_S9_S9_T1_bT2_lS9_S9_lbT3_lS9_S9_lSA_T4_lS9_S9_l.kd
    .uniform_work_group_size: 1
    .uses_dynamic_stack: false
    .vgpr_count:     24
    .vgpr_spill_count: 0
    .wavefront_size: 64
  - .agpr_count:     0
    .args:
      - .offset:         0
        .size:           8
        .value_kind:     by_value
      - .offset:         8
        .size:           8
        .value_kind:     by_value
      - .offset:         16
        .size:           8
        .value_kind:     by_value
      - .offset:         24
        .size:           16
        .value_kind:     by_value
      - .offset:         40
        .size:           1
        .value_kind:     by_value
      - .address_space:  global
        .offset:         48
        .size:           8
        .value_kind:     global_buffer
      - .offset:         56
        .size:           8
        .value_kind:     by_value
      - .offset:         64
        .size:           8
        .value_kind:     by_value
      - .offset:         72
        .size:           8
        .value_kind:     by_value
      - .offset:         80
        .size:           8
        .value_kind:     by_value
      - .offset:         88
        .size:           1
        .value_kind:     by_value
      - .address_space:  global
        .offset:         96
        .size:           8
        .value_kind:     global_buffer
      - .offset:         104
        .size:           8
        .value_kind:     by_value
      - .offset:         112
        .size:           8
        .value_kind:     by_value
      - .offset:         120
        .size:           8
        .value_kind:     by_value
      - .offset:         128
        .size:           8
        .value_kind:     by_value
      - .offset:         136
        .size:           16
        .value_kind:     by_value
      - .address_space:  global
        .offset:         152
        .size:           8
        .value_kind:     global_buffer
      - .offset:         160
        .size:           8
        .value_kind:     by_value
      - .offset:         168
        .size:           8
        .value_kind:     by_value
      - .offset:         176
        .size:           8
        .value_kind:     by_value
      - .offset:         184
        .size:           8
        .value_kind:     by_value
      - .offset:         192
        .size:           4
        .value_kind:     hidden_block_count_x
      - .offset:         196
        .size:           4
        .value_kind:     hidden_block_count_y
      - .offset:         200
        .size:           4
        .value_kind:     hidden_block_count_z
      - .offset:         204
        .size:           2
        .value_kind:     hidden_group_size_x
      - .offset:         206
        .size:           2
        .value_kind:     hidden_group_size_y
      - .offset:         208
        .size:           2
        .value_kind:     hidden_group_size_z
      - .offset:         210
        .size:           2
        .value_kind:     hidden_remainder_x
      - .offset:         212
        .size:           2
        .value_kind:     hidden_remainder_y
      - .offset:         214
        .size:           2
        .value_kind:     hidden_remainder_z
      - .offset:         232
        .size:           8
        .value_kind:     hidden_global_offset_x
      - .offset:         240
        .size:           8
        .value_kind:     hidden_global_offset_y
      - .offset:         248
        .size:           8
        .value_kind:     hidden_global_offset_z
      - .offset:         256
        .size:           2
        .value_kind:     hidden_grid_dims
    .group_segment_fixed_size: 0
    .kernarg_segment_align: 8
    .kernarg_segment_size: 448
    .language:       OpenCL C
    .language_version:
      - 2
      - 0
    .max_flat_workgroup_size: 1024
    .name:           _ZN9rocsolver6v33100L11gemm_kernelI19rocblas_complex_numIdElS3_PKPS3_S4_S4_EEvT0_S7_S7_T1_bT2_lS7_S7_lbT3_lS7_S7_lS8_T4_lS7_S7_l
    .private_segment_fixed_size: 0
    .sgpr_count:     48
    .sgpr_spill_count: 0
    .symbol:         _ZN9rocsolver6v33100L11gemm_kernelI19rocblas_complex_numIdElS3_PKPS3_S4_S4_EEvT0_S7_S7_T1_bT2_lS7_S7_lbT3_lS7_S7_lS8_T4_lS7_S7_l.kd
    .uniform_work_group_size: 1
    .uses_dynamic_stack: false
    .vgpr_count:     24
    .vgpr_spill_count: 0
    .wavefront_size: 64
  - .agpr_count:     0
    .args:
      - .offset:         0
        .size:           4
        .value_kind:     by_value
      - .offset:         4
        .size:           4
        .value_kind:     by_value
      - .offset:         8
        .size:           8
        .value_kind:     by_value
      - .offset:         16
        .size:           8
        .value_kind:     by_value
      - .offset:         24
        .size:           8
        .value_kind:     by_value
      - .address_space:  global
        .offset:         32
        .size:           8
        .value_kind:     global_buffer
      - .address_space:  global
        .offset:         40
        .size:           8
        .value_kind:     global_buffer
      - .offset:         48
        .size:           8
        .value_kind:     by_value
      - .offset:         56
        .size:           8
        .value_kind:     by_value
      - .offset:         64
        .size:           8
        .value_kind:     by_value
      - .offset:         72
        .size:           8
        .value_kind:     by_value
      - .address_space:  global
        .offset:         80
        .size:           8
        .value_kind:     global_buffer
      - .offset:         88
        .size:           8
        .value_kind:     by_value
      - .offset:         96
        .size:           8
        .value_kind:     by_value
      - .offset:         104
        .size:           8
        .value_kind:     by_value
      - .offset:         112
        .size:           8
        .value_kind:     by_value
      - .address_space:  global
        .offset:         120
        .size:           8
        .value_kind:     global_buffer
      - .address_space:  global
        .offset:         128
        .size:           8
        .value_kind:     global_buffer
      - .offset:         136
        .size:           8
        .value_kind:     by_value
      - .offset:         144
        .size:           8
        .value_kind:     by_value
      - .offset:         152
        .size:           8
        .value_kind:     by_value
      - .offset:         160
        .size:           8
        .value_kind:     by_value
      - .offset:         168
        .size:           4
        .value_kind:     hidden_block_count_x
      - .offset:         172
        .size:           4
        .value_kind:     hidden_block_count_y
      - .offset:         176
        .size:           4
        .value_kind:     hidden_block_count_z
      - .offset:         180
        .size:           2
        .value_kind:     hidden_group_size_x
      - .offset:         182
        .size:           2
        .value_kind:     hidden_group_size_y
      - .offset:         184
        .size:           2
        .value_kind:     hidden_group_size_z
      - .offset:         186
        .size:           2
        .value_kind:     hidden_remainder_x
      - .offset:         188
        .size:           2
        .value_kind:     hidden_remainder_y
      - .offset:         190
        .size:           2
        .value_kind:     hidden_remainder_z
      - .offset:         208
        .size:           8
        .value_kind:     hidden_global_offset_x
      - .offset:         216
        .size:           8
        .value_kind:     hidden_global_offset_y
      - .offset:         224
        .size:           8
        .value_kind:     hidden_global_offset_z
      - .offset:         232
        .size:           2
        .value_kind:     hidden_grid_dims
    .group_segment_fixed_size: 0
    .kernarg_segment_align: 8
    .kernarg_segment_size: 424
    .language:       OpenCL C
    .language_version:
      - 2
      - 0
    .max_flat_workgroup_size: 1024
    .name:           _ZN9rocsolver6v33100L16mfma_gemm_kernelI19rocblas_complex_numIdElPKS3_PS3_PKS6_S6_EEv18rocblas_operation_S9_T0_SA_SA_T1_T2_lSA_SA_lT3_lSA_SA_lSB_T4_lSA_SA_l
    .private_segment_fixed_size: 0
    .sgpr_count:     66
    .sgpr_spill_count: 0
    .symbol:         _ZN9rocsolver6v33100L16mfma_gemm_kernelI19rocblas_complex_numIdElPKS3_PS3_PKS6_S6_EEv18rocblas_operation_S9_T0_SA_SA_T1_T2_lSA_SA_lT3_lSA_SA_lSB_T4_lSA_SA_l.kd
    .uniform_work_group_size: 1
    .uses_dynamic_stack: false
    .vgpr_count:     70
    .vgpr_spill_count: 0
    .wavefront_size: 64
  - .agpr_count:     0
    .args:
      - .offset:         0
        .size:           4
        .value_kind:     by_value
      - .offset:         4
        .size:           4
        .value_kind:     by_value
      - .offset:         8
        .size:           8
        .value_kind:     by_value
      - .offset:         16
        .size:           8
        .value_kind:     by_value
      - .offset:         24
        .size:           8
        .value_kind:     by_value
      - .offset:         32
        .size:           16
        .value_kind:     by_value
      - .address_space:  global
        .offset:         48
        .size:           8
        .value_kind:     global_buffer
      - .offset:         56
        .size:           8
        .value_kind:     by_value
      - .offset:         64
        .size:           8
        .value_kind:     by_value
      - .offset:         72
        .size:           8
        .value_kind:     by_value
      - .offset:         80
        .size:           8
        .value_kind:     by_value
      - .address_space:  global
        .offset:         88
        .size:           8
        .value_kind:     global_buffer
      - .offset:         96
        .size:           8
        .value_kind:     by_value
      - .offset:         104
        .size:           8
        .value_kind:     by_value
      - .offset:         112
        .size:           8
        .value_kind:     by_value
      - .offset:         120
        .size:           8
        .value_kind:     by_value
      - .offset:         128
        .size:           16
        .value_kind:     by_value
      - .address_space:  global
        .offset:         144
        .size:           8
        .value_kind:     global_buffer
      - .offset:         152
        .size:           8
        .value_kind:     by_value
      - .offset:         160
        .size:           8
        .value_kind:     by_value
      - .offset:         168
        .size:           8
        .value_kind:     by_value
      - .offset:         176
        .size:           8
        .value_kind:     by_value
      - .offset:         184
        .size:           4
        .value_kind:     hidden_block_count_x
      - .offset:         188
        .size:           4
        .value_kind:     hidden_block_count_y
      - .offset:         192
        .size:           4
        .value_kind:     hidden_block_count_z
      - .offset:         196
        .size:           2
        .value_kind:     hidden_group_size_x
      - .offset:         198
        .size:           2
        .value_kind:     hidden_group_size_y
      - .offset:         200
        .size:           2
        .value_kind:     hidden_group_size_z
      - .offset:         202
        .size:           2
        .value_kind:     hidden_remainder_x
      - .offset:         204
        .size:           2
        .value_kind:     hidden_remainder_y
      - .offset:         206
        .size:           2
        .value_kind:     hidden_remainder_z
      - .offset:         224
        .size:           8
        .value_kind:     hidden_global_offset_x
      - .offset:         232
        .size:           8
        .value_kind:     hidden_global_offset_y
      - .offset:         240
        .size:           8
        .value_kind:     hidden_global_offset_z
      - .offset:         248
        .size:           2
        .value_kind:     hidden_grid_dims
    .group_segment_fixed_size: 0
    .kernarg_segment_align: 8
    .kernarg_segment_size: 440
    .language:       OpenCL C
    .language_version:
      - 2
      - 0
    .max_flat_workgroup_size: 1024
    .name:           _ZN9rocsolver6v33100L16mfma_gemm_kernelI19rocblas_complex_numIdElS3_PS3_PKS4_S4_EEv18rocblas_operation_S7_T0_S8_S8_T1_T2_lS8_S8_lT3_lS8_S8_lS9_T4_lS8_S8_l
    .private_segment_fixed_size: 0
    .sgpr_count:     66
    .sgpr_spill_count: 0
    .symbol:         _ZN9rocsolver6v33100L16mfma_gemm_kernelI19rocblas_complex_numIdElS3_PS3_PKS4_S4_EEv18rocblas_operation_S7_T0_S8_S8_T1_T2_lS8_S8_lT3_lS8_S8_lS9_T4_lS8_S8_l.kd
    .uniform_work_group_size: 1
    .uses_dynamic_stack: false
    .vgpr_count:     70
    .vgpr_spill_count: 0
    .wavefront_size: 64
  - .agpr_count:     0
    .args:
      - .offset:         0
        .size:           8
        .value_kind:     by_value
      - .offset:         8
        .size:           8
        .value_kind:     by_value
      - .offset:         16
        .size:           8
        .value_kind:     by_value
      - .address_space:  global
        .offset:         24
        .size:           8
        .value_kind:     global_buffer
      - .offset:         32
        .size:           1
        .value_kind:     by_value
      - .address_space:  global
        .offset:         40
        .size:           8
        .value_kind:     global_buffer
      - .offset:         48
        .size:           8
        .value_kind:     by_value
      - .offset:         56
        .size:           8
        .value_kind:     by_value
      - .offset:         64
        .size:           8
        .value_kind:     by_value
      - .offset:         72
        .size:           8
        .value_kind:     by_value
      - .offset:         80
        .size:           1
        .value_kind:     by_value
      - .address_space:  global
        .offset:         88
        .size:           8
        .value_kind:     global_buffer
      - .offset:         96
        .size:           8
        .value_kind:     by_value
      - .offset:         104
        .size:           8
        .value_kind:     by_value
      - .offset:         112
        .size:           8
        .value_kind:     by_value
      - .offset:         120
        .size:           8
        .value_kind:     by_value
      - .address_space:  global
        .offset:         128
        .size:           8
        .value_kind:     global_buffer
      - .address_space:  global
        .offset:         136
        .size:           8
        .value_kind:     global_buffer
      - .offset:         144
        .size:           8
        .value_kind:     by_value
      - .offset:         152
        .size:           8
        .value_kind:     by_value
      - .offset:         160
        .size:           8
        .value_kind:     by_value
      - .offset:         168
        .size:           8
        .value_kind:     by_value
      - .offset:         176
        .size:           4
        .value_kind:     hidden_block_count_x
      - .offset:         180
        .size:           4
        .value_kind:     hidden_block_count_y
      - .offset:         184
        .size:           4
        .value_kind:     hidden_block_count_z
      - .offset:         188
        .size:           2
        .value_kind:     hidden_group_size_x
      - .offset:         190
        .size:           2
        .value_kind:     hidden_group_size_y
      - .offset:         192
        .size:           2
        .value_kind:     hidden_group_size_z
      - .offset:         194
        .size:           2
        .value_kind:     hidden_remainder_x
      - .offset:         196
        .size:           2
        .value_kind:     hidden_remainder_y
      - .offset:         198
        .size:           2
        .value_kind:     hidden_remainder_z
      - .offset:         216
        .size:           8
        .value_kind:     hidden_global_offset_x
      - .offset:         224
        .size:           8
        .value_kind:     hidden_global_offset_y
      - .offset:         232
        .size:           8
        .value_kind:     hidden_global_offset_z
      - .offset:         240
        .size:           2
        .value_kind:     hidden_grid_dims
    .group_segment_fixed_size: 0
    .kernarg_segment_align: 8
    .kernarg_segment_size: 432
    .language:       OpenCL C
    .language_version:
      - 2
      - 0
    .max_flat_workgroup_size: 1024
    .name:           _ZN9rocsolver6v33100L11gemm_kernelI19rocblas_complex_numIdElPKS3_PS3_PKS6_S6_EEvT0_S9_S9_T1_bT2_lS9_S9_lbT3_lS9_S9_lSA_T4_lS9_S9_l
    .private_segment_fixed_size: 0
    .sgpr_count:     52
    .sgpr_spill_count: 0
    .symbol:         _ZN9rocsolver6v33100L11gemm_kernelI19rocblas_complex_numIdElPKS3_PS3_PKS6_S6_EEvT0_S9_S9_T1_bT2_lS9_S9_lbT3_lS9_S9_lSA_T4_lS9_S9_l.kd
    .uniform_work_group_size: 1
    .uses_dynamic_stack: false
    .vgpr_count:     24
    .vgpr_spill_count: 0
    .wavefront_size: 64
  - .agpr_count:     0
    .args:
      - .offset:         0
        .size:           8
        .value_kind:     by_value
      - .offset:         8
        .size:           8
        .value_kind:     by_value
      - .offset:         16
        .size:           8
        .value_kind:     by_value
      - .offset:         24
        .size:           16
        .value_kind:     by_value
      - .offset:         40
        .size:           1
        .value_kind:     by_value
      - .address_space:  global
        .offset:         48
        .size:           8
        .value_kind:     global_buffer
      - .offset:         56
        .size:           8
        .value_kind:     by_value
      - .offset:         64
        .size:           8
        .value_kind:     by_value
      - .offset:         72
        .size:           8
        .value_kind:     by_value
      - .offset:         80
        .size:           8
        .value_kind:     by_value
      - .offset:         88
        .size:           1
        .value_kind:     by_value
      - .address_space:  global
        .offset:         96
        .size:           8
        .value_kind:     global_buffer
      - .offset:         104
        .size:           8
        .value_kind:     by_value
      - .offset:         112
        .size:           8
        .value_kind:     by_value
      - .offset:         120
        .size:           8
        .value_kind:     by_value
      - .offset:         128
        .size:           8
        .value_kind:     by_value
      - .offset:         136
        .size:           16
        .value_kind:     by_value
      - .address_space:  global
        .offset:         152
        .size:           8
        .value_kind:     global_buffer
      - .offset:         160
        .size:           8
        .value_kind:     by_value
      - .offset:         168
        .size:           8
        .value_kind:     by_value
      - .offset:         176
        .size:           8
        .value_kind:     by_value
      - .offset:         184
        .size:           8
        .value_kind:     by_value
      - .offset:         192
        .size:           4
        .value_kind:     hidden_block_count_x
      - .offset:         196
        .size:           4
        .value_kind:     hidden_block_count_y
      - .offset:         200
        .size:           4
        .value_kind:     hidden_block_count_z
      - .offset:         204
        .size:           2
        .value_kind:     hidden_group_size_x
      - .offset:         206
        .size:           2
        .value_kind:     hidden_group_size_y
      - .offset:         208
        .size:           2
        .value_kind:     hidden_group_size_z
      - .offset:         210
        .size:           2
        .value_kind:     hidden_remainder_x
      - .offset:         212
        .size:           2
        .value_kind:     hidden_remainder_y
      - .offset:         214
        .size:           2
        .value_kind:     hidden_remainder_z
      - .offset:         232
        .size:           8
        .value_kind:     hidden_global_offset_x
      - .offset:         240
        .size:           8
        .value_kind:     hidden_global_offset_y
      - .offset:         248
        .size:           8
        .value_kind:     hidden_global_offset_z
      - .offset:         256
        .size:           2
        .value_kind:     hidden_grid_dims
    .group_segment_fixed_size: 0
    .kernarg_segment_align: 8
    .kernarg_segment_size: 448
    .language:       OpenCL C
    .language_version:
      - 2
      - 0
    .max_flat_workgroup_size: 1024
    .name:           _ZN9rocsolver6v33100L11gemm_kernelI19rocblas_complex_numIdElS3_PS3_PKS4_S4_EEvT0_S7_S7_T1_bT2_lS7_S7_lbT3_lS7_S7_lS8_T4_lS7_S7_l
    .private_segment_fixed_size: 0
    .sgpr_count:     56
    .sgpr_spill_count: 0
    .symbol:         _ZN9rocsolver6v33100L11gemm_kernelI19rocblas_complex_numIdElS3_PS3_PKS4_S4_EEvT0_S7_S7_T1_bT2_lS7_S7_lbT3_lS7_S7_lS8_T4_lS7_S7_l.kd
    .uniform_work_group_size: 1
    .uses_dynamic_stack: false
    .vgpr_count:     24
    .vgpr_spill_count: 0
    .wavefront_size: 64
  - .agpr_count:     0
    .args:
      - .offset:         0
        .size:           4
        .value_kind:     by_value
      - .offset:         4
        .size:           4
        .value_kind:     by_value
      - .offset:         8
        .size:           8
        .value_kind:     by_value
      - .offset:         16
        .size:           8
        .value_kind:     by_value
      - .offset:         24
        .size:           8
        .value_kind:     by_value
      - .address_space:  global
        .offset:         32
        .size:           8
        .value_kind:     global_buffer
      - .address_space:  global
        .offset:         40
        .size:           8
        .value_kind:     global_buffer
      - .offset:         48
        .size:           8
        .value_kind:     by_value
      - .offset:         56
        .size:           8
        .value_kind:     by_value
      - .offset:         64
        .size:           8
        .value_kind:     by_value
      - .offset:         72
        .size:           8
        .value_kind:     by_value
      - .address_space:  global
        .offset:         80
        .size:           8
        .value_kind:     global_buffer
      - .offset:         88
        .size:           8
        .value_kind:     by_value
      - .offset:         96
        .size:           8
        .value_kind:     by_value
      - .offset:         104
        .size:           8
        .value_kind:     by_value
      - .offset:         112
        .size:           8
        .value_kind:     by_value
      - .address_space:  global
        .offset:         120
        .size:           8
        .value_kind:     global_buffer
      - .address_space:  global
        .offset:         128
        .size:           8
        .value_kind:     global_buffer
      - .offset:         136
        .size:           8
        .value_kind:     by_value
      - .offset:         144
        .size:           8
        .value_kind:     by_value
      - .offset:         152
        .size:           8
        .value_kind:     by_value
      - .offset:         160
        .size:           8
        .value_kind:     by_value
      - .offset:         168
        .size:           4
        .value_kind:     hidden_block_count_x
      - .offset:         172
        .size:           4
        .value_kind:     hidden_block_count_y
      - .offset:         176
        .size:           4
        .value_kind:     hidden_block_count_z
      - .offset:         180
        .size:           2
        .value_kind:     hidden_group_size_x
      - .offset:         182
        .size:           2
        .value_kind:     hidden_group_size_y
      - .offset:         184
        .size:           2
        .value_kind:     hidden_group_size_z
      - .offset:         186
        .size:           2
        .value_kind:     hidden_remainder_x
      - .offset:         188
        .size:           2
        .value_kind:     hidden_remainder_y
      - .offset:         190
        .size:           2
        .value_kind:     hidden_remainder_z
      - .offset:         208
        .size:           8
        .value_kind:     hidden_global_offset_x
      - .offset:         216
        .size:           8
        .value_kind:     hidden_global_offset_y
      - .offset:         224
        .size:           8
        .value_kind:     hidden_global_offset_z
      - .offset:         232
        .size:           2
        .value_kind:     hidden_grid_dims
    .group_segment_fixed_size: 0
    .kernarg_segment_align: 8
    .kernarg_segment_size: 424
    .language:       OpenCL C
    .language_version:
      - 2
      - 0
    .max_flat_workgroup_size: 1024
    .name:           _ZN9rocsolver6v33100L16mfma_gemm_kernelI19rocblas_complex_numIdElPKS3_PS3_S6_PKS6_EEv18rocblas_operation_S9_T0_SA_SA_T1_T2_lSA_SA_lT3_lSA_SA_lSB_T4_lSA_SA_l
    .private_segment_fixed_size: 0
    .sgpr_count:     64
    .sgpr_spill_count: 0
    .symbol:         _ZN9rocsolver6v33100L16mfma_gemm_kernelI19rocblas_complex_numIdElPKS3_PS3_S6_PKS6_EEv18rocblas_operation_S9_T0_SA_SA_T1_T2_lSA_SA_lT3_lSA_SA_lSB_T4_lSA_SA_l.kd
    .uniform_work_group_size: 1
    .uses_dynamic_stack: false
    .vgpr_count:     70
    .vgpr_spill_count: 0
    .wavefront_size: 64
  - .agpr_count:     0
    .args:
      - .offset:         0
        .size:           4
        .value_kind:     by_value
      - .offset:         4
        .size:           4
        .value_kind:     by_value
      - .offset:         8
        .size:           8
        .value_kind:     by_value
      - .offset:         16
        .size:           8
        .value_kind:     by_value
      - .offset:         24
        .size:           8
        .value_kind:     by_value
      - .offset:         32
        .size:           16
        .value_kind:     by_value
      - .address_space:  global
        .offset:         48
        .size:           8
        .value_kind:     global_buffer
      - .offset:         56
        .size:           8
        .value_kind:     by_value
      - .offset:         64
        .size:           8
        .value_kind:     by_value
      - .offset:         72
        .size:           8
        .value_kind:     by_value
      - .offset:         80
        .size:           8
        .value_kind:     by_value
      - .address_space:  global
        .offset:         88
        .size:           8
        .value_kind:     global_buffer
      - .offset:         96
        .size:           8
        .value_kind:     by_value
      - .offset:         104
        .size:           8
        .value_kind:     by_value
      - .offset:         112
        .size:           8
        .value_kind:     by_value
      - .offset:         120
        .size:           8
        .value_kind:     by_value
      - .offset:         128
        .size:           16
        .value_kind:     by_value
      - .address_space:  global
        .offset:         144
        .size:           8
        .value_kind:     global_buffer
      - .offset:         152
        .size:           8
        .value_kind:     by_value
      - .offset:         160
        .size:           8
        .value_kind:     by_value
      - .offset:         168
        .size:           8
        .value_kind:     by_value
      - .offset:         176
        .size:           8
        .value_kind:     by_value
      - .offset:         184
        .size:           4
        .value_kind:     hidden_block_count_x
      - .offset:         188
        .size:           4
        .value_kind:     hidden_block_count_y
      - .offset:         192
        .size:           4
        .value_kind:     hidden_block_count_z
      - .offset:         196
        .size:           2
        .value_kind:     hidden_group_size_x
      - .offset:         198
        .size:           2
        .value_kind:     hidden_group_size_y
      - .offset:         200
        .size:           2
        .value_kind:     hidden_group_size_z
      - .offset:         202
        .size:           2
        .value_kind:     hidden_remainder_x
      - .offset:         204
        .size:           2
        .value_kind:     hidden_remainder_y
      - .offset:         206
        .size:           2
        .value_kind:     hidden_remainder_z
      - .offset:         224
        .size:           8
        .value_kind:     hidden_global_offset_x
      - .offset:         232
        .size:           8
        .value_kind:     hidden_global_offset_y
      - .offset:         240
        .size:           8
        .value_kind:     hidden_global_offset_z
      - .offset:         248
        .size:           2
        .value_kind:     hidden_grid_dims
    .group_segment_fixed_size: 0
    .kernarg_segment_align: 8
    .kernarg_segment_size: 440
    .language:       OpenCL C
    .language_version:
      - 2
      - 0
    .max_flat_workgroup_size: 1024
    .name:           _ZN9rocsolver6v33100L16mfma_gemm_kernelI19rocblas_complex_numIdElS3_PS3_S4_PKS4_EEv18rocblas_operation_S7_T0_S8_S8_T1_T2_lS8_S8_lT3_lS8_S8_lS9_T4_lS8_S8_l
    .private_segment_fixed_size: 0
    .sgpr_count:     68
    .sgpr_spill_count: 0
    .symbol:         _ZN9rocsolver6v33100L16mfma_gemm_kernelI19rocblas_complex_numIdElS3_PS3_S4_PKS4_EEv18rocblas_operation_S7_T0_S8_S8_T1_T2_lS8_S8_lT3_lS8_S8_lS9_T4_lS8_S8_l.kd
    .uniform_work_group_size: 1
    .uses_dynamic_stack: false
    .vgpr_count:     70
    .vgpr_spill_count: 0
    .wavefront_size: 64
  - .agpr_count:     0
    .args:
      - .offset:         0
        .size:           8
        .value_kind:     by_value
      - .offset:         8
        .size:           8
        .value_kind:     by_value
      - .offset:         16
        .size:           8
        .value_kind:     by_value
      - .address_space:  global
        .offset:         24
        .size:           8
        .value_kind:     global_buffer
      - .offset:         32
        .size:           1
        .value_kind:     by_value
      - .address_space:  global
        .offset:         40
        .size:           8
        .value_kind:     global_buffer
      - .offset:         48
        .size:           8
        .value_kind:     by_value
      - .offset:         56
        .size:           8
        .value_kind:     by_value
      - .offset:         64
        .size:           8
        .value_kind:     by_value
      - .offset:         72
        .size:           8
        .value_kind:     by_value
      - .offset:         80
        .size:           1
        .value_kind:     by_value
      - .address_space:  global
        .offset:         88
        .size:           8
        .value_kind:     global_buffer
      - .offset:         96
        .size:           8
        .value_kind:     by_value
      - .offset:         104
        .size:           8
        .value_kind:     by_value
      - .offset:         112
        .size:           8
        .value_kind:     by_value
      - .offset:         120
        .size:           8
        .value_kind:     by_value
      - .address_space:  global
        .offset:         128
        .size:           8
        .value_kind:     global_buffer
      - .address_space:  global
        .offset:         136
        .size:           8
        .value_kind:     global_buffer
      - .offset:         144
        .size:           8
        .value_kind:     by_value
      - .offset:         152
        .size:           8
        .value_kind:     by_value
      - .offset:         160
        .size:           8
        .value_kind:     by_value
      - .offset:         168
        .size:           8
        .value_kind:     by_value
      - .offset:         176
        .size:           4
        .value_kind:     hidden_block_count_x
      - .offset:         180
        .size:           4
        .value_kind:     hidden_block_count_y
      - .offset:         184
        .size:           4
        .value_kind:     hidden_block_count_z
      - .offset:         188
        .size:           2
        .value_kind:     hidden_group_size_x
      - .offset:         190
        .size:           2
        .value_kind:     hidden_group_size_y
      - .offset:         192
        .size:           2
        .value_kind:     hidden_group_size_z
      - .offset:         194
        .size:           2
        .value_kind:     hidden_remainder_x
      - .offset:         196
        .size:           2
        .value_kind:     hidden_remainder_y
      - .offset:         198
        .size:           2
        .value_kind:     hidden_remainder_z
      - .offset:         216
        .size:           8
        .value_kind:     hidden_global_offset_x
      - .offset:         224
        .size:           8
        .value_kind:     hidden_global_offset_y
      - .offset:         232
        .size:           8
        .value_kind:     hidden_global_offset_z
      - .offset:         240
        .size:           2
        .value_kind:     hidden_grid_dims
    .group_segment_fixed_size: 0
    .kernarg_segment_align: 8
    .kernarg_segment_size: 432
    .language:       OpenCL C
    .language_version:
      - 2
      - 0
    .max_flat_workgroup_size: 1024
    .name:           _ZN9rocsolver6v33100L11gemm_kernelI19rocblas_complex_numIdElPKS3_PS3_S6_PKS6_EEvT0_S9_S9_T1_bT2_lS9_S9_lbT3_lS9_S9_lSA_T4_lS9_S9_l
    .private_segment_fixed_size: 0
    .sgpr_count:     48
    .sgpr_spill_count: 0
    .symbol:         _ZN9rocsolver6v33100L11gemm_kernelI19rocblas_complex_numIdElPKS3_PS3_S6_PKS6_EEvT0_S9_S9_T1_bT2_lS9_S9_lbT3_lS9_S9_lSA_T4_lS9_S9_l.kd
    .uniform_work_group_size: 1
    .uses_dynamic_stack: false
    .vgpr_count:     24
    .vgpr_spill_count: 0
    .wavefront_size: 64
  - .agpr_count:     0
    .args:
      - .offset:         0
        .size:           8
        .value_kind:     by_value
      - .offset:         8
        .size:           8
        .value_kind:     by_value
      - .offset:         16
        .size:           8
        .value_kind:     by_value
      - .offset:         24
        .size:           16
        .value_kind:     by_value
      - .offset:         40
        .size:           1
        .value_kind:     by_value
      - .address_space:  global
        .offset:         48
        .size:           8
        .value_kind:     global_buffer
      - .offset:         56
        .size:           8
        .value_kind:     by_value
      - .offset:         64
        .size:           8
        .value_kind:     by_value
      - .offset:         72
        .size:           8
        .value_kind:     by_value
      - .offset:         80
        .size:           8
        .value_kind:     by_value
      - .offset:         88
        .size:           1
        .value_kind:     by_value
      - .address_space:  global
        .offset:         96
        .size:           8
        .value_kind:     global_buffer
      - .offset:         104
        .size:           8
        .value_kind:     by_value
      - .offset:         112
        .size:           8
        .value_kind:     by_value
      - .offset:         120
        .size:           8
        .value_kind:     by_value
      - .offset:         128
        .size:           8
        .value_kind:     by_value
      - .offset:         136
        .size:           16
        .value_kind:     by_value
      - .address_space:  global
        .offset:         152
        .size:           8
        .value_kind:     global_buffer
      - .offset:         160
        .size:           8
        .value_kind:     by_value
      - .offset:         168
        .size:           8
        .value_kind:     by_value
      - .offset:         176
        .size:           8
        .value_kind:     by_value
      - .offset:         184
        .size:           8
        .value_kind:     by_value
      - .offset:         192
        .size:           4
        .value_kind:     hidden_block_count_x
      - .offset:         196
        .size:           4
        .value_kind:     hidden_block_count_y
      - .offset:         200
        .size:           4
        .value_kind:     hidden_block_count_z
      - .offset:         204
        .size:           2
        .value_kind:     hidden_group_size_x
      - .offset:         206
        .size:           2
        .value_kind:     hidden_group_size_y
      - .offset:         208
        .size:           2
        .value_kind:     hidden_group_size_z
      - .offset:         210
        .size:           2
        .value_kind:     hidden_remainder_x
      - .offset:         212
        .size:           2
        .value_kind:     hidden_remainder_y
      - .offset:         214
        .size:           2
        .value_kind:     hidden_remainder_z
      - .offset:         232
        .size:           8
        .value_kind:     hidden_global_offset_x
      - .offset:         240
        .size:           8
        .value_kind:     hidden_global_offset_y
      - .offset:         248
        .size:           8
        .value_kind:     hidden_global_offset_z
      - .offset:         256
        .size:           2
        .value_kind:     hidden_grid_dims
    .group_segment_fixed_size: 0
    .kernarg_segment_align: 8
    .kernarg_segment_size: 448
    .language:       OpenCL C
    .language_version:
      - 2
      - 0
    .max_flat_workgroup_size: 1024
    .name:           _ZN9rocsolver6v33100L11gemm_kernelI19rocblas_complex_numIdElS3_PS3_S4_PKS4_EEvT0_S7_S7_T1_bT2_lS7_S7_lbT3_lS7_S7_lS8_T4_lS7_S7_l
    .private_segment_fixed_size: 0
    .sgpr_count:     48
    .sgpr_spill_count: 0
    .symbol:         _ZN9rocsolver6v33100L11gemm_kernelI19rocblas_complex_numIdElS3_PS3_S4_PKS4_EEvT0_S7_S7_T1_bT2_lS7_S7_lbT3_lS7_S7_lS8_T4_lS7_S7_l.kd
    .uniform_work_group_size: 1
    .uses_dynamic_stack: false
    .vgpr_count:     24
    .vgpr_spill_count: 0
    .wavefront_size: 64
amdhsa.target:   amdgcn-amd-amdhsa--gfx90a
amdhsa.version:
  - 1
  - 2
...

	.end_amdgpu_metadata
